;; amdgpu-corpus repo=ROCm/rocFFT kind=compiled arch=gfx906 opt=O3
	.text
	.amdgcn_target "amdgcn-amd-amdhsa--gfx906"
	.amdhsa_code_object_version 6
	.protected	fft_rtc_fwd_len1155_factors_11_5_7_3_wgs_55_tpt_55_halfLds_half_op_CI_CI_sbrr_dirReg ; -- Begin function fft_rtc_fwd_len1155_factors_11_5_7_3_wgs_55_tpt_55_halfLds_half_op_CI_CI_sbrr_dirReg
	.globl	fft_rtc_fwd_len1155_factors_11_5_7_3_wgs_55_tpt_55_halfLds_half_op_CI_CI_sbrr_dirReg
	.p2align	8
	.type	fft_rtc_fwd_len1155_factors_11_5_7_3_wgs_55_tpt_55_halfLds_half_op_CI_CI_sbrr_dirReg,@function
fft_rtc_fwd_len1155_factors_11_5_7_3_wgs_55_tpt_55_halfLds_half_op_CI_CI_sbrr_dirReg: ; @fft_rtc_fwd_len1155_factors_11_5_7_3_wgs_55_tpt_55_halfLds_half_op_CI_CI_sbrr_dirReg
; %bb.0:
	s_load_dwordx4 s[16:19], s[4:5], 0x18
	s_load_dwordx4 s[12:15], s[4:5], 0x0
	;; [unrolled: 1-line block ×3, first 2 shown]
	v_mul_u32_u24_e32 v1, 0x4a8, v0
	v_mov_b32_e32 v7, 0
	s_waitcnt lgkmcnt(0)
	s_load_dwordx2 s[2:3], s[16:17], 0x0
	s_load_dwordx2 s[20:21], s[18:19], 0x0
	v_cmp_lt_u64_e64 s[0:1], s[14:15], 2
	v_mov_b32_e32 v5, 0
	v_add_u32_sdwa v9, s6, v1 dst_sel:DWORD dst_unused:UNUSED_PAD src0_sel:DWORD src1_sel:WORD_1
	v_mov_b32_e32 v10, v7
	s_and_b64 vcc, exec, s[0:1]
	v_mov_b32_e32 v6, 0
	s_cbranch_vccnz .LBB0_8
; %bb.1:
	s_load_dwordx2 s[0:1], s[4:5], 0x10
	s_add_u32 s6, s18, 8
	s_addc_u32 s7, s19, 0
	s_add_u32 s22, s16, 8
	s_addc_u32 s23, s17, 0
	v_mov_b32_e32 v5, 0
	s_waitcnt lgkmcnt(0)
	s_add_u32 s24, s0, 8
	v_mov_b32_e32 v6, 0
	v_mov_b32_e32 v1, v5
	s_addc_u32 s25, s1, 0
	s_mov_b64 s[26:27], 1
	v_mov_b32_e32 v2, v6
.LBB0_2:                                ; =>This Inner Loop Header: Depth=1
	s_load_dwordx2 s[28:29], s[24:25], 0x0
                                        ; implicit-def: $vgpr3_vgpr4
	s_waitcnt lgkmcnt(0)
	v_or_b32_e32 v8, s29, v10
	v_cmp_ne_u64_e32 vcc, 0, v[7:8]
	s_and_saveexec_b64 s[0:1], vcc
	s_xor_b64 s[30:31], exec, s[0:1]
	s_cbranch_execz .LBB0_4
; %bb.3:                                ;   in Loop: Header=BB0_2 Depth=1
	v_cvt_f32_u32_e32 v3, s28
	v_cvt_f32_u32_e32 v4, s29
	s_sub_u32 s0, 0, s28
	s_subb_u32 s1, 0, s29
	v_mac_f32_e32 v3, 0x4f800000, v4
	v_rcp_f32_e32 v3, v3
	v_mul_f32_e32 v3, 0x5f7ffffc, v3
	v_mul_f32_e32 v4, 0x2f800000, v3
	v_trunc_f32_e32 v4, v4
	v_mac_f32_e32 v3, 0xcf800000, v4
	v_cvt_u32_f32_e32 v4, v4
	v_cvt_u32_f32_e32 v3, v3
	v_mul_lo_u32 v8, s0, v4
	v_mul_hi_u32 v11, s0, v3
	v_mul_lo_u32 v13, s1, v3
	v_mul_lo_u32 v12, s0, v3
	v_add_u32_e32 v8, v11, v8
	v_add_u32_e32 v8, v8, v13
	v_mul_hi_u32 v11, v3, v12
	v_mul_lo_u32 v13, v3, v8
	v_mul_hi_u32 v15, v3, v8
	v_mul_hi_u32 v14, v4, v12
	v_mul_lo_u32 v12, v4, v12
	v_mul_hi_u32 v16, v4, v8
	v_add_co_u32_e32 v11, vcc, v11, v13
	v_addc_co_u32_e32 v13, vcc, 0, v15, vcc
	v_mul_lo_u32 v8, v4, v8
	v_add_co_u32_e32 v11, vcc, v11, v12
	v_addc_co_u32_e32 v11, vcc, v13, v14, vcc
	v_addc_co_u32_e32 v12, vcc, 0, v16, vcc
	v_add_co_u32_e32 v8, vcc, v11, v8
	v_addc_co_u32_e32 v11, vcc, 0, v12, vcc
	v_add_co_u32_e32 v3, vcc, v3, v8
	v_addc_co_u32_e32 v4, vcc, v4, v11, vcc
	v_mul_lo_u32 v8, s0, v4
	v_mul_hi_u32 v11, s0, v3
	v_mul_lo_u32 v12, s1, v3
	v_mul_lo_u32 v13, s0, v3
	v_add_u32_e32 v8, v11, v8
	v_add_u32_e32 v8, v8, v12
	v_mul_lo_u32 v14, v3, v8
	v_mul_hi_u32 v15, v3, v13
	v_mul_hi_u32 v16, v3, v8
	;; [unrolled: 1-line block ×3, first 2 shown]
	v_mul_lo_u32 v13, v4, v13
	v_mul_hi_u32 v11, v4, v8
	v_add_co_u32_e32 v14, vcc, v15, v14
	v_addc_co_u32_e32 v15, vcc, 0, v16, vcc
	v_mul_lo_u32 v8, v4, v8
	v_add_co_u32_e32 v13, vcc, v14, v13
	v_addc_co_u32_e32 v12, vcc, v15, v12, vcc
	v_addc_co_u32_e32 v11, vcc, 0, v11, vcc
	v_add_co_u32_e32 v8, vcc, v12, v8
	v_addc_co_u32_e32 v11, vcc, 0, v11, vcc
	v_add_co_u32_e32 v8, vcc, v3, v8
	v_addc_co_u32_e32 v11, vcc, v4, v11, vcc
	v_mad_u64_u32 v[3:4], s[0:1], v9, v11, 0
	v_mul_hi_u32 v12, v9, v8
	v_add_co_u32_e32 v13, vcc, v12, v3
	v_addc_co_u32_e32 v14, vcc, 0, v4, vcc
	v_mad_u64_u32 v[3:4], s[0:1], v10, v8, 0
	v_mad_u64_u32 v[11:12], s[0:1], v10, v11, 0
	v_add_co_u32_e32 v3, vcc, v13, v3
	v_addc_co_u32_e32 v3, vcc, v14, v4, vcc
	v_addc_co_u32_e32 v4, vcc, 0, v12, vcc
	v_add_co_u32_e32 v8, vcc, v3, v11
	v_addc_co_u32_e32 v11, vcc, 0, v4, vcc
	v_mul_lo_u32 v12, s29, v8
	v_mul_lo_u32 v13, s28, v11
	v_mad_u64_u32 v[3:4], s[0:1], s28, v8, 0
	v_add3_u32 v4, v4, v13, v12
	v_sub_u32_e32 v12, v10, v4
	v_mov_b32_e32 v13, s29
	v_sub_co_u32_e32 v3, vcc, v9, v3
	v_subb_co_u32_e64 v12, s[0:1], v12, v13, vcc
	v_subrev_co_u32_e64 v13, s[0:1], s28, v3
	v_subbrev_co_u32_e64 v12, s[0:1], 0, v12, s[0:1]
	v_cmp_le_u32_e64 s[0:1], s29, v12
	v_cndmask_b32_e64 v14, 0, -1, s[0:1]
	v_cmp_le_u32_e64 s[0:1], s28, v13
	v_cndmask_b32_e64 v13, 0, -1, s[0:1]
	v_cmp_eq_u32_e64 s[0:1], s29, v12
	v_cndmask_b32_e64 v12, v14, v13, s[0:1]
	v_add_co_u32_e64 v13, s[0:1], 2, v8
	v_addc_co_u32_e64 v14, s[0:1], 0, v11, s[0:1]
	v_add_co_u32_e64 v15, s[0:1], 1, v8
	v_addc_co_u32_e64 v16, s[0:1], 0, v11, s[0:1]
	v_subb_co_u32_e32 v4, vcc, v10, v4, vcc
	v_cmp_ne_u32_e64 s[0:1], 0, v12
	v_cmp_le_u32_e32 vcc, s29, v4
	v_cndmask_b32_e64 v12, v16, v14, s[0:1]
	v_cndmask_b32_e64 v14, 0, -1, vcc
	v_cmp_le_u32_e32 vcc, s28, v3
	v_cndmask_b32_e64 v3, 0, -1, vcc
	v_cmp_eq_u32_e32 vcc, s29, v4
	v_cndmask_b32_e32 v3, v14, v3, vcc
	v_cmp_ne_u32_e32 vcc, 0, v3
	v_cndmask_b32_e64 v3, v15, v13, s[0:1]
	v_cndmask_b32_e32 v4, v11, v12, vcc
	v_cndmask_b32_e32 v3, v8, v3, vcc
.LBB0_4:                                ;   in Loop: Header=BB0_2 Depth=1
	s_andn2_saveexec_b64 s[0:1], s[30:31]
	s_cbranch_execz .LBB0_6
; %bb.5:                                ;   in Loop: Header=BB0_2 Depth=1
	v_cvt_f32_u32_e32 v3, s28
	s_sub_i32 s30, 0, s28
	v_rcp_iflag_f32_e32 v3, v3
	v_mul_f32_e32 v3, 0x4f7ffffe, v3
	v_cvt_u32_f32_e32 v3, v3
	v_mul_lo_u32 v4, s30, v3
	v_mul_hi_u32 v4, v3, v4
	v_add_u32_e32 v3, v3, v4
	v_mul_hi_u32 v3, v9, v3
	v_mul_lo_u32 v4, v3, s28
	v_add_u32_e32 v8, 1, v3
	v_sub_u32_e32 v4, v9, v4
	v_subrev_u32_e32 v11, s28, v4
	v_cmp_le_u32_e32 vcc, s28, v4
	v_cndmask_b32_e32 v4, v4, v11, vcc
	v_cndmask_b32_e32 v3, v3, v8, vcc
	v_add_u32_e32 v8, 1, v3
	v_cmp_le_u32_e32 vcc, s28, v4
	v_cndmask_b32_e32 v3, v3, v8, vcc
	v_mov_b32_e32 v4, v7
.LBB0_6:                                ;   in Loop: Header=BB0_2 Depth=1
	s_or_b64 exec, exec, s[0:1]
	v_mul_lo_u32 v8, v4, s28
	v_mul_lo_u32 v13, v3, s29
	v_mad_u64_u32 v[11:12], s[0:1], v3, s28, 0
	s_load_dwordx2 s[0:1], s[22:23], 0x0
	s_load_dwordx2 s[28:29], s[6:7], 0x0
	v_add3_u32 v8, v12, v13, v8
	v_sub_co_u32_e32 v9, vcc, v9, v11
	v_subb_co_u32_e32 v8, vcc, v10, v8, vcc
	s_waitcnt lgkmcnt(0)
	v_mul_lo_u32 v10, s0, v8
	v_mul_lo_u32 v11, s1, v9
	v_mad_u64_u32 v[5:6], s[0:1], s0, v9, v[5:6]
	v_mul_lo_u32 v8, s28, v8
	v_mul_lo_u32 v12, s29, v9
	v_mad_u64_u32 v[1:2], s[0:1], s28, v9, v[1:2]
	s_add_u32 s26, s26, 1
	s_addc_u32 s27, s27, 0
	s_add_u32 s6, s6, 8
	v_add3_u32 v2, v12, v2, v8
	s_addc_u32 s7, s7, 0
	v_mov_b32_e32 v8, s14
	s_add_u32 s22, s22, 8
	v_mov_b32_e32 v9, s15
	s_addc_u32 s23, s23, 0
	v_cmp_ge_u64_e32 vcc, s[26:27], v[8:9]
	s_add_u32 s24, s24, 8
	v_add3_u32 v6, v11, v6, v10
	s_addc_u32 s25, s25, 0
	s_cbranch_vccnz .LBB0_9
; %bb.7:                                ;   in Loop: Header=BB0_2 Depth=1
	v_mov_b32_e32 v10, v4
	v_mov_b32_e32 v9, v3
	s_branch .LBB0_2
.LBB0_8:
	v_mov_b32_e32 v1, v5
	v_mov_b32_e32 v3, v9
	;; [unrolled: 1-line block ×4, first 2 shown]
.LBB0_9:
	s_load_dwordx2 s[0:1], s[4:5], 0x28
	s_lshl_b64 s[14:15], s[14:15], 3
	s_add_u32 s4, s18, s14
	s_addc_u32 s5, s19, s15
                                        ; implicit-def: $sgpr18
                                        ; implicit-def: $sgpr19
                                        ; implicit-def: $vgpr7
	s_waitcnt lgkmcnt(0)
	v_cmp_gt_u64_e32 vcc, s[0:1], v[3:4]
	v_cmp_le_u64_e64 s[0:1], s[0:1], v[3:4]
	s_and_saveexec_b64 s[6:7], s[0:1]
	s_xor_b64 s[0:1], exec, s[6:7]
; %bb.10:
	s_mov_b32 s6, 0x4a7904b
	v_mul_hi_u32 v5, v0, s6
	s_mov_b32 s19, 0
	s_mov_b32 s18, 0
	v_mul_u32_u24_e32 v5, 55, v5
	v_sub_u32_e32 v7, v0, v5
                                        ; implicit-def: $vgpr0
                                        ; implicit-def: $vgpr5_vgpr6
; %bb.11:
	s_or_saveexec_b64 s[6:7], s[0:1]
	s_load_dwordx2 s[4:5], s[4:5], 0x0
	v_mov_b32_e32 v41, s19
	v_mov_b32_e32 v14, s18
                                        ; implicit-def: $vgpr39
                                        ; implicit-def: $vgpr40
                                        ; implicit-def: $vgpr48
                                        ; implicit-def: $vgpr15
                                        ; implicit-def: $vgpr47
                                        ; implicit-def: $vgpr13
                                        ; implicit-def: $vgpr46
                                        ; implicit-def: $vgpr11
                                        ; implicit-def: $vgpr45
                                        ; implicit-def: $vgpr9
                                        ; implicit-def: $vgpr44
                                        ; implicit-def: $vgpr8
                                        ; implicit-def: $vgpr49
                                        ; implicit-def: $vgpr12
                                        ; implicit-def: $vgpr54
                                        ; implicit-def: $vgpr17
                                        ; implicit-def: $vgpr60
                                        ; implicit-def: $vgpr18
                                        ; implicit-def: $vgpr30
                                        ; implicit-def: $vgpr28
                                        ; implicit-def: $vgpr31
                                        ; implicit-def: $vgpr26
                                        ; implicit-def: $vgpr32
                                        ; implicit-def: $vgpr25
                                        ; implicit-def: $vgpr33
                                        ; implicit-def: $vgpr23
                                        ; implicit-def: $vgpr27
                                        ; implicit-def: $vgpr21
                                        ; implicit-def: $vgpr24
                                        ; implicit-def: $vgpr34
                                        ; implicit-def: $vgpr19
                                        ; implicit-def: $vgpr38
                                        ; implicit-def: $vgpr20
                                        ; implicit-def: $vgpr36
                                        ; implicit-def: $vgpr22
                                        ; implicit-def: $vgpr35
                                        ; implicit-def: $vgpr37
                                        ; implicit-def: $vgpr72
                                        ; implicit-def: $vgpr29
                                        ; implicit-def: $vgpr58
                                        ; implicit-def: $vgpr16
	s_xor_b64 exec, exec, s[6:7]
	s_cbranch_execz .LBB0_15
; %bb.12:
	s_add_u32 s0, s16, s14
	s_mov_b32 s14, 0x4a7904b
	v_mul_hi_u32 v7, v0, s14
	s_addc_u32 s1, s17, s15
	s_load_dwordx2 s[0:1], s[0:1], 0x0
	v_lshlrev_b64 v[5:6], 2, v[5:6]
	v_mul_u32_u24_e32 v7, 55, v7
	v_sub_u32_e32 v7, v0, v7
	v_mad_u64_u32 v[8:9], s[14:15], s2, v7, 0
	s_waitcnt lgkmcnt(0)
	v_mul_lo_u32 v14, s1, v3
	v_mul_lo_u32 v15, s0, v4
	v_mad_u64_u32 v[10:11], s[0:1], s0, v3, 0
	v_mov_b32_e32 v0, v9
	v_mad_u64_u32 v[12:13], s[0:1], s3, v7, v[0:1]
	v_add3_u32 v11, v11, v15, v14
	v_lshlrev_b64 v[10:11], 2, v[10:11]
	v_mov_b32_e32 v9, v12
	v_mov_b32_e32 v0, s9
	v_add_co_u32_e64 v12, s[0:1], s8, v10
	v_add_u32_e32 v14, 0x69, v7
	v_addc_co_u32_e64 v13, s[0:1], v0, v11, s[0:1]
	v_mad_u64_u32 v[10:11], s[0:1], s2, v14, 0
	v_add_co_u32_e64 v0, s[0:1], v12, v5
	v_addc_co_u32_e64 v5, s[0:1], v13, v6, s[0:1]
	v_mov_b32_e32 v6, v11
	v_mad_u64_u32 v[11:12], s[0:1], s3, v14, v[6:7]
	v_add_u32_e32 v14, 0xd2, v7
	v_mad_u64_u32 v[12:13], s[0:1], s2, v14, 0
	v_lshlrev_b64 v[8:9], 2, v[8:9]
	v_mov_b32_e32 v41, 0
	v_add_co_u32_e64 v17, s[0:1], v0, v8
	v_mov_b32_e32 v6, v13
	v_addc_co_u32_e64 v18, s[0:1], v5, v9, s[0:1]
	v_lshlrev_b64 v[8:9], 2, v[10:11]
	v_mad_u64_u32 v[10:11], s[0:1], s3, v14, v[6:7]
	v_add_u32_e32 v11, 0x13b, v7
	v_mad_u64_u32 v[14:15], s[0:1], s2, v11, 0
	v_add_co_u32_e64 v19, s[0:1], v0, v8
	v_mov_b32_e32 v13, v10
	v_mov_b32_e32 v6, v15
	v_addc_co_u32_e64 v20, s[0:1], v5, v9, s[0:1]
	v_lshlrev_b64 v[8:9], 2, v[12:13]
	v_mad_u64_u32 v[10:11], s[0:1], s3, v11, v[6:7]
	v_add_u32_e32 v13, 0x1a4, v7
	v_mad_u64_u32 v[11:12], s[0:1], s2, v13, 0
	v_add_co_u32_e64 v21, s[0:1], v0, v8
	v_mov_b32_e32 v6, v12
	v_addc_co_u32_e64 v22, s[0:1], v5, v9, s[0:1]
	v_mov_b32_e32 v15, v10
	v_mad_u64_u32 v[12:13], s[0:1], s3, v13, v[6:7]
	v_add_u32_e32 v10, 0x20d, v7
	v_lshlrev_b64 v[8:9], 2, v[14:15]
	v_mad_u64_u32 v[13:14], s[0:1], s2, v10, 0
	v_add_co_u32_e64 v23, s[0:1], v0, v8
	v_mov_b32_e32 v6, v14
	v_addc_co_u32_e64 v24, s[0:1], v5, v9, s[0:1]
	v_lshlrev_b64 v[8:9], 2, v[11:12]
	v_mad_u64_u32 v[10:11], s[0:1], s3, v10, v[6:7]
	v_add_u32_e32 v15, 0x276, v7
	v_mad_u64_u32 v[11:12], s[0:1], s2, v15, 0
	v_add_co_u32_e64 v25, s[0:1], v0, v8
	v_mov_b32_e32 v14, v10
	v_mov_b32_e32 v6, v12
	v_addc_co_u32_e64 v26, s[0:1], v5, v9, s[0:1]
	v_lshlrev_b64 v[8:9], 2, v[13:14]
	v_mad_u64_u32 v[12:13], s[0:1], s3, v15, v[6:7]
	v_add_u32_e32 v10, 0x2df, v7
	v_mad_u64_u32 v[13:14], s[0:1], s2, v10, 0
	v_add_co_u32_e64 v27, s[0:1], v0, v8
	v_mov_b32_e32 v6, v14
	v_addc_co_u32_e64 v28, s[0:1], v5, v9, s[0:1]
	v_lshlrev_b64 v[8:9], 2, v[11:12]
	v_mad_u64_u32 v[10:11], s[0:1], s3, v10, v[6:7]
	v_add_co_u32_e64 v29, s[0:1], v0, v8
	v_mov_b32_e32 v14, v10
	v_add_u32_e32 v10, 0x348, v7
	v_addc_co_u32_e64 v30, s[0:1], v5, v9, s[0:1]
	v_mad_u64_u32 v[31:32], s[0:1], s2, v10, 0
	v_lshlrev_b64 v[8:9], 2, v[13:14]
	v_add_u32_e32 v14, 0x3b1, v7
	v_add_co_u32_e64 v33, s[0:1], v0, v8
	v_addc_co_u32_e64 v34, s[0:1], v5, v9, s[0:1]
	v_mov_b32_e32 v6, v32
	v_mad_u64_u32 v[35:36], s[0:1], s2, v14, 0
	v_mad_u64_u32 v[10:11], s[0:1], s3, v10, v[6:7]
	v_mov_b32_e32 v6, v36
	global_load_dword v40, v[17:18], off
	global_load_dword v15, v[19:20], off
	;; [unrolled: 1-line block ×8, first 2 shown]
	v_mov_b32_e32 v32, v10
	v_mad_u64_u32 v[19:20], s[0:1], s3, v14, v[6:7]
	v_add_u32_e32 v10, 0x41a, v7
	v_mad_u64_u32 v[20:21], s[0:1], s2, v10, 0
	v_lshlrev_b64 v[17:18], 2, v[31:32]
	v_mov_b32_e32 v36, v19
	v_add_co_u32_e64 v22, s[0:1], v0, v17
	v_mov_b32_e32 v6, v21
	v_addc_co_u32_e64 v23, s[0:1], v5, v18, s[0:1]
	v_mad_u64_u32 v[24:25], s[0:1], s3, v10, v[6:7]
	v_lshlrev_b64 v[17:18], 2, v[35:36]
	v_mov_b32_e32 v14, 0
	v_add_co_u32_e64 v25, s[0:1], v0, v17
	v_mov_b32_e32 v21, v24
	v_addc_co_u32_e64 v26, s[0:1], v5, v18, s[0:1]
	v_lshlrev_b64 v[17:18], 2, v[20:21]
                                        ; implicit-def: $vgpr37
                                        ; implicit-def: $vgpr35
                                        ; implicit-def: $vgpr36
                                        ; implicit-def: $vgpr38
                                        ; implicit-def: $vgpr34
                                        ; implicit-def: $vgpr24
                                        ; implicit-def: $vgpr21
                                        ; implicit-def: $vgpr27
                                        ; implicit-def: $vgpr33
                                        ; implicit-def: $vgpr32
                                        ; implicit-def: $vgpr31
                                        ; implicit-def: $vgpr28
                                        ; implicit-def: $vgpr30
	v_add_co_u32_e64 v19, s[0:1], v0, v17
	v_addc_co_u32_e64 v20, s[0:1], v5, v18, s[0:1]
	global_load_dword v17, v[22:23], off
	global_load_dword v18, v[25:26], off
	;; [unrolled: 1-line block ×3, first 2 shown]
	v_cmp_gt_u32_e64 s[0:1], 50, v7
                                        ; implicit-def: $vgpr22
                                        ; implicit-def: $vgpr20
                                        ; implicit-def: $vgpr19
                                        ; implicit-def: $vgpr23
                                        ; implicit-def: $vgpr25
                                        ; implicit-def: $vgpr26
	s_and_saveexec_b64 s[8:9], s[0:1]
	s_cbranch_execz .LBB0_14
; %bb.13:
	v_add_u32_e32 v10, 55, v7
	v_mad_u64_u32 v[19:20], s[0:1], s2, v10, 0
	v_add_u32_e32 v14, 0xa0, v7
	v_mad_u64_u32 v[21:22], s[0:1], s2, v14, 0
	v_mov_b32_e32 v6, v20
	v_mad_u64_u32 v[23:24], s[0:1], s3, v10, v[6:7]
	v_mov_b32_e32 v6, v22
	v_add_u32_e32 v10, 0x109, v7
	v_mov_b32_e32 v20, v23
	v_mad_u64_u32 v[22:23], s[0:1], s3, v14, v[6:7]
	v_mad_u64_u32 v[23:24], s[0:1], s2, v10, 0
	v_lshlrev_b64 v[19:20], 2, v[19:20]
	v_lshlrev_b64 v[21:22], 2, v[21:22]
	v_add_co_u32_e64 v19, s[0:1], v0, v19
	v_mov_b32_e32 v6, v24
	v_addc_co_u32_e64 v20, s[0:1], v5, v20, s[0:1]
	v_mad_u64_u32 v[24:25], s[0:1], s3, v10, v[6:7]
	v_add_u32_e32 v10, 0x172, v7
	v_mad_u64_u32 v[25:26], s[0:1], s2, v10, 0
	v_add_co_u32_e64 v30, s[0:1], v0, v21
	v_mov_b32_e32 v6, v26
	v_addc_co_u32_e64 v31, s[0:1], v5, v22, s[0:1]
	v_lshlrev_b64 v[21:22], 2, v[23:24]
	v_mad_u64_u32 v[23:24], s[0:1], s3, v10, v[6:7]
	v_add_u32_e32 v10, 0x1db, v7
	v_mad_u64_u32 v[27:28], s[0:1], s2, v10, 0
	v_add_co_u32_e64 v32, s[0:1], v0, v21
	v_mov_b32_e32 v6, v28
	v_addc_co_u32_e64 v33, s[0:1], v5, v22, s[0:1]
	v_mov_b32_e32 v26, v23
	v_mad_u64_u32 v[23:24], s[0:1], s3, v10, v[6:7]
	v_add_u32_e32 v10, 0x244, v7
	v_lshlrev_b64 v[21:22], 2, v[25:26]
	v_mad_u64_u32 v[24:25], s[0:1], s2, v10, 0
	v_add_co_u32_e64 v34, s[0:1], v0, v21
	v_mov_b32_e32 v6, v25
	v_addc_co_u32_e64 v35, s[0:1], v5, v22, s[0:1]
	v_mov_b32_e32 v28, v23
	v_mad_u64_u32 v[25:26], s[0:1], s3, v10, v[6:7]
	v_lshlrev_b64 v[21:22], 2, v[27:28]
	v_add_u32_e32 v10, 0x2ad, v7
	v_add_co_u32_e64 v36, s[0:1], v0, v21
	v_addc_co_u32_e64 v37, s[0:1], v5, v22, s[0:1]
	v_lshlrev_b64 v[21:22], 2, v[24:25]
	v_add_u32_e32 v14, 0x316, v7
	v_add_co_u32_e64 v38, s[0:1], v0, v21
	v_addc_co_u32_e64 v39, s[0:1], v5, v22, s[0:1]
	v_mad_u64_u32 v[42:43], s[0:1], s2, v10, 0
	v_mad_u64_u32 v[44:45], s[0:1], s2, v14, 0
	v_mov_b32_e32 v6, v43
	v_mad_u64_u32 v[22:23], s[0:1], s3, v10, v[6:7]
	v_mov_b32_e32 v6, v45
	v_mad_u64_u32 v[24:25], s[0:1], s3, v14, v[6:7]
	v_add_u32_e32 v10, 0x37f, v7
	global_load_dword v41, v[19:20], off
	global_load_dword v28, v[30:31], off
	;; [unrolled: 1-line block ×6, first 2 shown]
	v_mad_u64_u32 v[32:33], s[0:1], s2, v10, 0
	v_mov_b32_e32 v45, v24
	v_lshlrev_b64 v[30:31], 2, v[44:45]
	v_mov_b32_e32 v6, v33
	v_add_co_u32_e64 v30, s[0:1], v0, v30
	v_addc_co_u32_e64 v31, s[0:1], v5, v31, s[0:1]
	v_mad_u64_u32 v[33:34], s[0:1], s3, v10, v[6:7]
	v_add_u32_e32 v10, 0x3e8, v7
	v_mad_u64_u32 v[35:36], s[0:1], s2, v10, 0
	global_load_dword v34, v[30:31], off
	v_lshlrev_b64 v[30:31], 2, v[32:33]
	v_mov_b32_e32 v6, v36
	v_mad_u64_u32 v[32:33], s[0:1], s3, v10, v[6:7]
	v_add_u32_e32 v10, 0x451, v7
	v_mad_u64_u32 v[37:38], s[0:1], s2, v10, 0
	v_add_co_u32_e64 v30, s[0:1], v0, v30
	v_mov_b32_e32 v36, v32
	v_mov_b32_e32 v6, v38
	v_addc_co_u32_e64 v31, s[0:1], v5, v31, s[0:1]
	v_lshlrev_b64 v[32:33], 2, v[35:36]
	v_mad_u64_u32 v[35:36], s[0:1], s3, v10, v[6:7]
	v_add_co_u32_e64 v32, s[0:1], v0, v32
	v_mov_b32_e32 v38, v35
	v_lshlrev_b64 v[35:36], 2, v[37:38]
	v_mov_b32_e32 v43, v22
	v_addc_co_u32_e64 v33, s[0:1], v5, v33, s[0:1]
	v_lshlrev_b64 v[19:20], 2, v[42:43]
	v_add_co_u32_e64 v42, s[0:1], v0, v35
	v_addc_co_u32_e64 v43, s[0:1], v5, v36, s[0:1]
	v_add_co_u32_e64 v19, s[0:1], v0, v19
	v_addc_co_u32_e64 v20, s[0:1], v5, v20, s[0:1]
	global_load_dword v35, v[30:31], off
	global_load_dword v36, v[32:33], off
	;; [unrolled: 1-line block ×4, first 2 shown]
	s_mov_b32 s0, 0x7060302
	s_waitcnt vmcnt(9)
	v_lshrrev_b32_e32 v30, 16, v28
	s_waitcnt vmcnt(8)
	v_lshrrev_b32_e32 v31, 16, v26
	;; [unrolled: 2-line block ×9, first 2 shown]
	s_waitcnt vmcnt(0)
	v_perm_b32 v14, v41, v37, s0
.LBB0_14:
	s_or_b64 exec, exec, s[8:9]
	s_waitcnt vmcnt(10)
	v_lshrrev_b32_e32 v39, 16, v40
	s_waitcnt vmcnt(9)
	v_lshrrev_b32_e32 v48, 16, v15
	;; [unrolled: 2-line block ×11, first 2 shown]
.LBB0_15:
	s_or_b64 exec, exec, s[6:7]
	v_sub_f16_e32 v65, v48, v72
	v_add_f16_e32 v64, v29, v15
	s_mov_b32 s6, 0xbbad
	v_mul_f16_e32 v0, 0xb482, v65
	v_sub_f16_e32 v67, v47, v60
	v_fma_f16 v5, v64, s6, -v0
	v_add_f16_e32 v66, v13, v18
	s_movk_i32 s7, 0x3abb
	v_mul_f16_e32 v6, 0x3853, v67
	v_add_f16_e32 v5, v5, v40
	v_fma_f16 v10, v66, s7, -v6
	v_sub_f16_e32 v69, v46, v54
	v_add_f16_e32 v5, v10, v5
	v_add_f16_e32 v68, v11, v17
	s_mov_b32 s8, 0xb93d
	v_mul_f16_e32 v10, 0xba0c, v69
	v_fma_f16 v42, v68, s8, -v10
	v_sub_f16_e32 v71, v45, v49
	v_add_f16_e32 v5, v42, v5
	v_add_f16_e32 v70, v9, v12
	s_movk_i32 s9, 0x36a6
	v_mul_f16_e32 v42, 0x3b47, v71
	v_fma_f16 v43, v70, s9, -v42
	v_sub_f16_e32 v74, v44, v58
	v_add_f16_e32 v5, v43, v5
	v_add_f16_e32 v73, v16, v8
	s_mov_b32 s14, 0xb08e
	v_mul_f16_e32 v43, 0xbbeb, v74
	s_mov_b32 s1, 0xbb47b853
	v_fma_f16 v50, v73, s14, -v43
	s_mov_b32 s0, 0x36a63abb
	v_pk_mul_f16 v75, v65, s1 op_sel_hi:[0,1]
	s_mov_b32 s1, 0xba0cbb47
	v_add_f16_e32 v5, v50, v5
	v_pk_fma_f16 v50, v64, s0, v75 op_sel_hi:[0,1,1] neg_lo:[0,0,1] neg_hi:[0,0,1]
	s_mov_b32 s0, 0xb93d36a6
	v_pk_mul_f16 v76, v67, s1 op_sel_hi:[0,1]
	s_mov_b32 s1, 0x3482bbeb
	v_pk_add_f16 v50, v50, v40 op_sel_hi:[1,0]
	v_pk_fma_f16 v51, v66, s0, v76 op_sel_hi:[0,1,1] neg_lo:[0,0,1] neg_hi:[0,0,1]
	s_mov_b32 s0, 0xbbadb08e
	v_pk_mul_f16 v77, v69, s1 op_sel_hi:[0,1]
	s_mov_b32 s1, 0x3bebba0c
	v_pk_add_f16 v50, v51, v50
	v_pk_fma_f16 v51, v68, s0, v77 op_sel_hi:[0,1,1] neg_lo:[0,0,1] neg_hi:[0,0,1]
	s_mov_b32 s0, 0xb08eb93d
	v_pk_mul_f16 v78, v71, s1 op_sel_hi:[0,1]
	s_mov_b32 s1, 0x3853b482
	v_pk_add_f16 v50, v51, v50
	v_pk_fma_f16 v51, v70, s0, v78 op_sel_hi:[0,1,1] neg_lo:[0,0,1] neg_hi:[0,0,1]
	s_mov_b32 s0, 0x3abbbbad
	v_pk_mul_f16 v79, v74, s1 op_sel_hi:[0,1]
	v_pk_add_f16 v50, v51, v50
	v_pk_fma_f16 v51, v73, s0, v79 op_sel_hi:[0,1,1] neg_lo:[0,0,1] neg_hi:[0,0,1]
	s_mov_b32 s23, 0xba0cbbeb
	v_pk_add_f16 v50, v51, v50
	s_mov_b32 s17, 0xb93db08e
	v_pk_mul_f16 v51, v65, s23 op_sel_hi:[0,1]
	s_mov_b32 s24, 0x3beb3482
	s_mov_b32 s15, 0xb08ebbad
	v_pk_fma_f16 v52, v64, s17, v51 op_sel_hi:[0,1,1] neg_lo:[0,0,1] neg_hi:[0,0,1]
	v_pk_mul_f16 v53, v67, s24 op_sel_hi:[0,1]
	v_pk_add_f16 v52, v52, v40 op_sel_hi:[1,0]
	v_pk_fma_f16 v55, v66, s15, v53 op_sel_hi:[0,1,1] neg_lo:[0,0,1] neg_hi:[0,0,1]
	s_mov_b32 s25, 0xb8533b47
	v_pk_add_f16 v52, v55, v52
	s_mov_b32 s18, 0x3abb36a6
	v_pk_mul_f16 v55, v69, s25 op_sel_hi:[0,1]
	v_pk_fma_f16 v56, v68, s18, v55 op_sel_hi:[0,1,1] neg_lo:[0,0,1] neg_hi:[0,0,1]
	s_mov_b32 s26, 0xb482b853
	v_pk_add_f16 v52, v56, v52
	s_mov_b32 s19, 0xbbad3abb
	v_pk_mul_f16 v56, v71, s26 op_sel_hi:[0,1]
	;; [unrolled: 5-line block ×3, first 2 shown]
	v_pk_fma_f16 v59, v73, s22, v57 op_sel_hi:[0,1,1] neg_lo:[0,0,1] neg_hi:[0,0,1]
	s_mov_b32 s16, 0xffff
	v_pk_add_f16 v59, v59, v52
	v_bfi_b32 v0, s16, v0, v51
	v_mul_f16_e32 v51, 0xbbad, v64
	v_pk_mul_f16 v52, v64, s17 op_sel_hi:[0,1]
	v_bfi_b32 v51, s16, v51, v52
	v_pk_add_f16 v0, v0, v51
	v_mul_f16_e32 v51, 0x3abb, v66
	v_pk_mul_f16 v52, v66, s15 op_sel_hi:[0,1]
	v_bfi_b32 v6, s16, v6, v53
	v_bfi_b32 v51, s16, v51, v52
	v_pk_add_f16 v6, v6, v51
	v_pk_add_f16 v0, v0, v40 op_sel_hi:[1,0]
	v_pk_add_f16 v0, v6, v0
	v_bfi_b32 v6, s16, v10, v55
	v_mul_f16_e32 v10, 0xb93d, v68
	v_pk_mul_f16 v51, v68, s18 op_sel_hi:[0,1]
	v_bfi_b32 v10, s16, v10, v51
	v_pk_add_f16 v6, v6, v10
	v_pk_add_f16 v0, v6, v0
	v_bfi_b32 v6, s16, v42, v56
	v_mul_f16_e32 v10, 0x36a6, v70
	v_pk_mul_f16 v42, v70, s19 op_sel_hi:[0,1]
	v_bfi_b32 v10, s16, v10, v42
	v_pk_add_f16 v6, v6, v10
	v_mul_f16_e32 v10, 0xb08e, v73
	v_pk_mul_f16 v42, v73, s22 op_sel_hi:[0,1]
	v_pk_add_f16 v0, v6, v0
	v_bfi_b32 v6, s16, v43, v57
	v_bfi_b32 v10, s16, v10, v42
	v_pk_add_f16 v6, v6, v10
	v_pk_add_f16 v53, v6, v0
	v_add_f16_e32 v0, v40, v15
	v_add_f16_e32 v0, v0, v13
	;; [unrolled: 1-line block ×10, first 2 shown]
	v_alignbit_b32 v52, v5, v59, 16
	v_alignbit_b32 v51, v59, v50, 16
	v_pack_b32_f16 v50, v0, v50
	v_mad_u32_u24 v6, v7, 22, 0
	ds_write_b128 v6, v[50:53]
	v_add_f16_e32 v51, v28, v38
	s_mov_b32 s1, 0x36a6b08e
	s_mov_b32 s28, 0xb853bb47
	v_sub_f16_e32 v55, v30, v19
	v_pk_mul_f16 v0, v51, s18 op_sel_hi:[0,1]
	v_fma_f16 v75, v64, s7, v75
	s_mov_b32 s0, 0xbb47bbeb
	v_pk_mul_f16 v64, v64, s1 op_sel_hi:[0,1]
	v_pk_fma_f16 v5, v55, s28, v0 op_sel_hi:[0,1,1]
	v_add_f16_e32 v52, v26, v36
	v_pk_fma_f16 v64, v65, s0, v64 op_sel_hi:[0,1,1]
	s_mov_b32 s1, 0xb93dbbad
	v_pk_add_f16 v10, v41, v5 op_sel_hi:[0,1]
	s_mov_b32 s29, 0xbb47ba0c
	v_sub_f16_e32 v57, v31, v20
	v_pk_mul_f16 v5, v52, s22 op_sel_hi:[0,1]
	v_add_f16_e32 v75, v75, v40
	v_pk_add_f16 v40, v64, v40 op_sel_hi:[1,0]
	s_mov_b32 s0, 0xba0c3482
	v_pk_mul_f16 v64, v66, s1 op_sel_hi:[0,1]
	v_pk_fma_f16 v42, v57, s29, v5 op_sel_hi:[0,1,1]
	v_add_f16_e32 v53, v25, v35
	v_pk_fma_f16 v64, v67, s0, v64 op_sel_hi:[0,1,1]
	s_mov_b32 s1, 0xbbad36a6
	v_pk_add_f16 v10, v10, v42
	s_mov_b32 s30, 0xbbeb3482
	v_sub_f16_e32 v61, v32, v22
	v_pk_mul_f16 v42, v53, s15 op_sel_hi:[0,1]
	v_pk_add_f16 v40, v64, v40
	s_mov_b32 s0, 0x34823b47
	v_pk_mul_f16 v64, v68, s1 op_sel_hi:[0,1]
	v_pk_fma_f16 v43, v61, s30, v42 op_sel_hi:[0,1,1]
	v_add_f16_e32 v56, v23, v34
	v_pk_fma_f16 v64, v69, s0, v64 op_sel_hi:[0,1,1]
	s_mov_b32 s1, 0xb08e3abb
	v_pk_add_f16 v10, v10, v43
	s_mov_b32 s31, 0xba0c3beb
	v_sub_f16_e32 v62, v33, v24
	v_pk_mul_f16 v43, v56, s17 op_sel_hi:[0,1]
	v_pk_add_f16 v40, v64, v40
	s_mov_b32 s0, 0x3bebb853
	v_pk_mul_f16 v64, v70, s1 op_sel_hi:[0,1]
	v_pk_fma_f16 v50, v62, s31, v43 op_sel_hi:[0,1,1]
	v_add_f16_e32 v59, v21, v37
	v_fma_f16 v76, v66, s9, v76
	v_pk_fma_f16 v64, v71, s0, v64 op_sel_hi:[0,1,1]
	s_mov_b32 s1, 0x3abbb93d
	v_pk_add_f16 v10, v50, v10
	s_mov_b32 s33, 0xb4823853
	v_sub_f16_e32 v63, v27, v14
	v_pk_mul_f16 v50, v59, s19 op_sel_hi:[0,1]
	v_add_f16_e32 v75, v76, v75
	v_fma_f16 v76, v68, s14, v77
	v_pk_add_f16 v40, v64, v40
	s_mov_b32 s0, 0x3853ba0c
	v_pk_mul_f16 v64, v73, s1 op_sel_hi:[0,1]
	v_pk_fma_f16 v80, v63, s33, v50 op_sel_hi:[0,1,1]
	v_add_f16_e32 v75, v76, v75
	v_fma_f16 v76, v70, s8, v78
	v_pk_fma_f16 v64, v74, s0, v64 op_sel_hi:[0,1,1]
	v_pk_add_f16 v10, v10, v80
	v_add_f16_e32 v75, v76, v75
	v_fma_f16 v76, v73, s6, v79
	v_pk_add_f16 v40, v64, v40
	v_cmp_gt_u32_e64 s[2:3], 50, v7
	v_add_f16_e32 v75, v76, v75
	ds_write_b32 v6, v40 offset:16
	ds_write_b16 v6, v75 offset:20
	s_and_saveexec_b64 s[0:1], s[2:3]
	s_cbranch_execz .LBB0_17
; %bb.16:
	v_pack_b32_f16 v64, v55, v55
	v_pk_mul_f16 v65, v55, s28 op_sel_hi:[0,1]
	v_mul_f16_e32 v55, 0xb482, v55
	v_pack_b32_f16 v40, v51, v51
	s_mov_b32 s28, 0x5040100
	v_pack_b32_f16 v68, v57, v57
	v_pk_mul_f16 v69, v57, s29 op_sel_hi:[0,1]
	v_mul_f16_e32 v81, 0xbbad, v51
	v_mul_f16_e32 v57, 0x3853, v57
	v_fma_f16 v51, v51, s6, -v55
	v_perm_b32 v66, v41, v41, s28
	v_pack_b32_f16 v67, v52, v52
	v_pack_b32_f16 v71, v61, v61
	v_pk_mul_f16 v73, v61, s30 op_sel_hi:[0,1]
	v_mul_f16_e32 v82, 0x3abb, v52
	v_mul_f16_e32 v61, 0xba0c, v61
	v_add_f16_e32 v51, v41, v51
	v_fma_f16 v52, v52, s7, -v57
	v_pk_add_f16 v0, v0, v65 neg_lo:[0,1] neg_hi:[0,1]
	v_pack_b32_f16 v75, v62, v62
	v_pk_mul_f16 v76, v62, s31 op_sel_hi:[0,1]
	v_mul_f16_e32 v62, 0x3b47, v62
	v_add_f16_e32 v51, v51, v52
	v_fma_f16 v52, v53, s8, -v61
	v_pk_add_f16 v0, v66, v0
	v_pk_add_f16 v5, v5, v69 neg_lo:[0,1] neg_hi:[0,1]
	v_pack_b32_f16 v78, v63, v63
	v_pk_mul_f16 v79, v63, s33 op_sel_hi:[0,1]
	v_mul_f16_e32 v63, 0xbbeb, v63
	v_add_f16_e32 v51, v51, v52
	v_fma_f16 v52, v56, s9, -v62
	v_pk_add_f16 v0, v0, v5
	v_pk_add_f16 v5, v42, v73 neg_lo:[0,1] neg_hi:[0,1]
	v_add_f16_e32 v51, v52, v51
	v_fma_f16 v52, v59, s14, -v63
	v_pk_add_f16 v0, v0, v5
	v_pk_add_f16 v5, v43, v76 neg_lo:[0,1] neg_hi:[0,1]
	v_pack_b32_f16 v70, v53, v53
	v_mul_f16_e32 v83, 0xb93d, v53
	v_add_f16_e32 v51, v51, v52
	v_pk_mul_f16 v52, v40, s17
	v_pk_mul_f16 v53, v64, s23
	v_pk_add_f16 v0, v5, v0
	v_pk_add_f16 v5, v50, v79 neg_lo:[0,1] neg_hi:[0,1]
	v_pack_b32_f16 v74, v56, v56
	v_pack_b32_f16 v77, v59, v59
	v_mul_f16_e32 v84, 0x36a6, v56
	v_mul_f16_e32 v85, 0xb08e, v59
	v_pk_mul_f16 v56, v67, s15
	v_pk_mul_f16 v59, v68, s24
	v_add_f16_e32 v87, v53, v52
	v_pk_add_f16 v0, v0, v5
	v_pk_fma_f16 v5, v40, s17, v53 neg_lo:[0,0,1] neg_hi:[0,0,1]
	v_add_f16_e32 v80, v41, v28
	v_pk_mul_f16 v64, v70, s18
	v_pk_mul_f16 v68, v71, s25
	v_add_f16_e32 v41, v41, v87
	v_add_f16_e32 v87, v59, v56
	v_pk_add_f16 v5, v66, v5
	v_pk_fma_f16 v40, v67, s15, v59 neg_lo:[0,0,1] neg_hi:[0,0,1]
	v_pk_mul_f16 v71, v74, s19
	v_pk_mul_f16 v75, v75, s26
	v_add_f16_e32 v41, v41, v87
	v_add_f16_e32 v87, v68, v64
	v_pk_add_f16 v5, v5, v40
	v_pk_fma_f16 v40, v70, s18, v68 neg_lo:[0,0,1] neg_hi:[0,0,1]
	;; [unrolled: 6-line block ×3, first 2 shown]
	v_add_f16_e32 v41, v87, v41
	v_add_f16_e32 v87, v78, v86
	v_pk_add_f16 v5, v40, v5
	v_pk_fma_f16 v40, v77, s22, v78 neg_lo:[0,0,1] neg_hi:[0,0,1]
	v_add_f16_e32 v80, v80, v26
	v_add_f16_e32 v87, v41, v87
	v_pk_add_f16 v5, v5, v40
	v_bfi_b32 v40, s16, v55, v53
	v_bfi_b32 v41, s16, v81, v52
	v_add_f16_e32 v80, v80, v25
	v_pk_add_f16 v40, v40, v41
	v_bfi_b32 v41, s16, v57, v59
	v_bfi_b32 v42, s16, v82, v56
	v_add_f16_e32 v80, v80, v23
	v_pk_add_f16 v40, v66, v40
	v_pk_add_f16 v41, v41, v42
	v_add_f16_e32 v80, v80, v21
	v_pk_add_f16 v40, v40, v41
	v_bfi_b32 v41, s16, v61, v68
	v_bfi_b32 v42, s16, v83, v64
	v_add_f16_e32 v80, v80, v37
	v_pk_add_f16 v41, v41, v42
	v_add_f16_e32 v80, v34, v80
	v_pk_add_f16 v40, v40, v41
	v_bfi_b32 v41, s16, v62, v75
	v_bfi_b32 v42, s16, v84, v71
	v_add_f16_e32 v80, v35, v80
	;; [unrolled: 6-line block ×3, first 2 shown]
	v_pk_add_f16 v41, v41, v42
	v_pk_add_f16 v43, v40, v41
	v_alignbit_b32 v42, v51, v5, 16
	v_pack_b32_f16 v41, v0, v5
	v_bfi_b32 v40, s16, v80, v0
	ds_write_b128 v6, v[40:43] offset:1210
	ds_write_b16 v6, v87 offset:1226
	ds_write_b32 v6, v10 offset:1228
.LBB0_17:
	s_or_b64 exec, exec, s[0:1]
	s_movk_i32 s0, 0xffec
	v_mad_i32_i24 v0, v7, s0, v6
	s_waitcnt lgkmcnt(0)
	; wave barrier
	s_waitcnt lgkmcnt(0)
	ds_read_u16 v43, v0
	ds_read_u16 v42, v0 offset:110
	ds_read_u16 v41, v0 offset:220
	;; [unrolled: 1-line block ×19, first 2 shown]
	v_cmp_gt_u32_e64 s[0:1], 11, v7
                                        ; implicit-def: $vgpr50
                                        ; implicit-def: $vgpr51
                                        ; implicit-def: $vgpr52
	s_and_saveexec_b64 s[6:7], s[0:1]
	s_cbranch_execz .LBB0_19
; %bb.18:
	ds_read_u16 v5, v0 offset:440
	ds_read_u16 v10, v0 offset:902
	ds_read_u16 v52, v0 offset:1364
	ds_read_u16 v51, v0 offset:1826
	ds_read_u16 v50, v0 offset:2288
	s_mov_b32 s8, 0x5040100
	s_waitcnt lgkmcnt(3)
	v_perm_b32 v10, v10, v5, s8
.LBB0_19:
	s_or_b64 exec, exec, s[6:7]
	v_add_f16_e32 v5, v39, v48
	v_add_f16_e32 v5, v5, v47
	v_add_f16_e32 v5, v5, v46
	v_add_f16_e32 v5, v5, v45
	v_add_f16_e32 v5, v5, v44
	v_add_f16_e32 v5, v5, v58
	v_add_f16_e32 v5, v5, v49
	v_add_f16_e32 v5, v5, v54
	v_add_f16_e32 v5, v5, v60
	v_sub_f16_e32 v15, v15, v29
	v_add_f16_e32 v73, v72, v5
	v_add_f16_e32 v5, v72, v48
	s_mov_b32 s9, 0xbbad
	v_mul_f16_e32 v48, 0xb482, v15
	v_sub_f16_e32 v13, v13, v18
	v_fma_f16 v72, v5, s9, v48
	v_add_f16_e32 v47, v47, v60
	s_movk_i32 s14, 0x3abb
	v_mul_f16_e32 v60, 0x3853, v13
	v_sub_f16_e32 v11, v11, v17
	v_add_f16_e32 v72, v72, v39
	v_fma_f16 v74, v47, s14, v60
	v_add_f16_e32 v46, v46, v54
	s_mov_b32 s15, 0xb93d
	v_mul_f16_e32 v54, 0xba0c, v11
	v_sub_f16_e32 v9, v9, v12
	v_add_f16_e32 v72, v74, v72
	v_fma_f16 v74, v46, s15, v54
	v_add_f16_e32 v45, v45, v49
	s_movk_i32 s16, 0x36a6
	v_mul_f16_e32 v49, 0x3b47, v9
	s_mov_b32 s7, 0xbb47b853
	v_add_f16_e32 v72, v74, v72
	v_fma_f16 v74, v45, s16, v49
	v_sub_f16_e32 v8, v8, v16
	s_mov_b32 s6, 0x36a63abb
	v_pk_mul_f16 v16, v15, s7 op_sel_hi:[0,1]
	s_mov_b32 s7, 0xba0cbb47
	v_add_f16_e32 v72, v74, v72
	v_add_f16_e32 v44, v58, v44
	v_fma_f16 v58, v5, s14, -v16
	v_pk_fma_f16 v16, v5, s6, v16 op_sel_hi:[0,1,1]
	s_mov_b32 s6, 0xb93d36a6
	v_pk_mul_f16 v74, v13, s7 op_sel_hi:[0,1]
	v_pk_add_f16 v16, v16, v39 op_sel_hi:[1,0]
	v_fma_f16 v75, v47, s16, -v74
	v_pk_fma_f16 v74, v47, s6, v74 op_sel_hi:[0,1,1]
	s_mov_b32 s7, 0x3482bbeb
	v_add_f16_e32 v58, v58, v39
	v_pk_add_f16 v16, v74, v16
	s_mov_b32 s6, 0xbbadb08e
	v_pk_mul_f16 v74, v11, s7 op_sel_hi:[0,1]
	s_mov_b32 s8, 0xb08e
	v_add_f16_e32 v58, v75, v58
	v_fma_f16 v75, v46, s8, -v74
	v_pk_fma_f16 v74, v46, s6, v74 op_sel_hi:[0,1,1]
	s_mov_b32 s7, 0x3bebba0c
	v_pk_add_f16 v16, v74, v16
	s_mov_b32 s6, 0xb08eb93d
	v_pk_mul_f16 v74, v9, s7 op_sel_hi:[0,1]
	v_add_f16_e32 v58, v75, v58
	v_fma_f16 v75, v45, s15, -v74
	v_pk_fma_f16 v74, v45, s6, v74 op_sel_hi:[0,1,1]
	s_mov_b32 s6, 0x3abbbbad
	s_mov_b32 s7, 0x3853b482
	v_add_f16_e32 v58, v75, v58
	v_pk_add_f16 v16, v74, v16
	v_pk_mul_f16 v74, v44, s6 op_sel_hi:[0,1]
	v_pk_mul_f16 v75, v8, s7 op_sel_hi:[0,1]
	s_mov_b32 s19, 0xba0cbbeb
	s_mov_b32 s7, 0x3b473beb
	v_pk_fma_f16 v76, v44, s6, v75 op_sel_hi:[0,1,1]
	v_sub_f16_e32 v74, v74, v75
	v_pk_mul_f16 v75, v15, s19 op_sel_hi:[0,1]
	s_mov_b32 s23, 0x3beb3482
	s_mov_b32 s6, 0x36a6b08e
	v_pk_mul_f16 v15, v15, s7 op_sel_hi:[0,1]
	s_mov_b32 s7, 0x3a0cb482
	v_mul_f16_e32 v29, 0xbbad, v5
	v_add_f16_e32 v58, v74, v58
	v_pk_add_f16 v74, v76, v16
	v_pk_mul_f16 v16, v5, s17 op_sel_hi:[0,1]
	v_pk_fma_f16 v76, v5, s17, v75 op_sel_hi:[0,1,1]
	v_pk_mul_f16 v78, v13, s23 op_sel_hi:[0,1]
	v_pk_fma_f16 v5, v5, s6, v15 op_sel_hi:[0,1,1]
	s_mov_b32 s6, 0xb93dbbad
	v_pk_mul_f16 v13, v13, s7 op_sel_hi:[0,1]
	s_mov_b32 s7, 0xb482bb47
	v_pk_mul_f16 v80, v11, s25 op_sel_hi:[0,1]
	s_mov_b32 s27, 0xb482b853
	v_pk_add_f16 v5, v5, v39 op_sel_hi:[1,0]
	v_pk_fma_f16 v13, v47, s6, v13 op_sel_hi:[0,1,1]
	s_mov_b32 s6, 0xbbad36a6
	v_pk_mul_f16 v11, v11, s7 op_sel_hi:[0,1]
	s_mov_b32 s7, 0xbbeb3853
	v_pk_mul_f16 v82, v9, s27 op_sel_hi:[0,1]
	v_pk_add_f16 v5, v13, v5
	v_pk_fma_f16 v11, v46, s6, v11 op_sel_hi:[0,1,1]
	s_mov_b32 s6, 0xb08e3abb
	v_pk_mul_f16 v9, v9, s7 op_sel_hi:[0,1]
	s_mov_b32 s18, 0xb08ebbad
	v_pk_add_f16 v5, v11, v5
	v_pk_fma_f16 v9, v45, s6, v9 op_sel_hi:[0,1,1]
	s_mov_b32 s7, 0xb8533a0c
	v_pk_add_f16 v76, v76, v39 op_sel_hi:[1,0]
	v_pk_fma_f16 v79, v47, s18, v78 op_sel_hi:[0,1,1]
	s_mov_b32 s22, 0x3abb36a6
	s_mov_b32 s29, 0x3b47ba0c
	v_pk_add_f16 v5, v9, v5
	s_mov_b32 s6, 0x3abbb93d
	v_pk_mul_f16 v9, v8, s7 op_sel_hi:[0,1]
	v_pk_add_f16 v76, v79, v76
	v_pk_fma_f16 v81, v46, s22, v80 op_sel_hi:[0,1,1]
	s_mov_b32 s24, 0xbbad3abb
	v_pk_mul_f16 v84, v8, s29 op_sel_hi:[0,1]
	v_pk_fma_f16 v9, v44, s6, v9 op_sel_hi:[0,1,1]
	v_mul_f16_e32 v8, 0xbbeb, v8
	v_mul_f16_e32 v12, 0x36a6, v45
	v_pk_add_f16 v76, v81, v76
	v_pk_mul_f16 v81, v45, s24 op_sel_hi:[0,1]
	v_pk_fma_f16 v83, v45, s24, v82 op_sel_hi:[0,1,1]
	s_mov_b32 s26, 0x36a6b93d
	v_pk_add_f16 v45, v9, v5
	v_fma_f16 v9, v44, s8, v8
	s_mov_b32 s28, 0xffff
	v_mul_f16_e32 v18, 0x3abb, v47
	v_pk_mul_f16 v77, v47, s18 op_sel_hi:[0,1]
	v_pk_add_f16 v76, v83, v76
	v_pk_mul_f16 v83, v44, s26 op_sel_hi:[0,1]
	v_pk_fma_f16 v85, v44, s26, v84 op_sel_hi:[0,1,1]
	v_mul_f16_e32 v5, 0xb08e, v44
	v_add_f16_e32 v44, v9, v72
	v_bfi_b32 v9, s28, v29, v16
	v_bfi_b32 v11, s28, v48, v75
	v_pk_add_f16 v9, v9, v11 neg_lo:[0,1] neg_hi:[0,1]
	v_bfi_b32 v11, s28, v18, v77
	v_bfi_b32 v13, s28, v60, v78
	v_mul_f16_e32 v17, 0xb93d, v46
	v_pk_mul_f16 v79, v46, s22 op_sel_hi:[0,1]
	v_pk_add_f16 v9, v9, v39 op_sel_hi:[1,0]
	v_pk_add_f16 v11, v11, v13 neg_lo:[0,1] neg_hi:[0,1]
	v_pk_add_f16 v9, v11, v9
	v_bfi_b32 v11, s28, v17, v79
	v_bfi_b32 v13, s28, v54, v80
	v_pk_add_f16 v11, v11, v13 neg_lo:[0,1] neg_hi:[0,1]
	v_pk_add_f16 v9, v11, v9
	v_bfi_b32 v11, s28, v12, v81
	v_bfi_b32 v12, s28, v49, v82
	v_pk_add_f16 v11, v11, v12 neg_lo:[0,1] neg_hi:[0,1]
	v_bfi_b32 v5, s28, v5, v83
	v_bfi_b32 v8, s28, v8, v84
	v_sub_f16_e32 v28, v28, v38
	s_mov_b32 s6, 0xb853bb47
	v_pk_add_f16 v9, v11, v9
	v_pk_add_f16 v5, v5, v8 neg_lo:[0,1] neg_hi:[0,1]
	v_add_f16_e32 v29, v30, v19
	v_sub_f16_e32 v26, v26, v36
	v_pk_mul_f16 v12, v28, s6 op_sel_hi:[0,1]
	s_mov_b32 s6, 0xbb47ba0c
	v_pk_add_f16 v39, v5, v9
	v_add_f16_e32 v17, v31, v20
	v_sub_f16_e32 v18, v25, v35
	v_sub_f16_e32 v16, v23, v34
	v_pk_fma_f16 v5, v29, s22, v12 op_sel_hi:[0,1,1] neg_lo:[0,0,1] neg_hi:[0,0,1]
	v_pk_mul_f16 v23, v26, s6 op_sel_hi:[0,1]
	s_mov_b32 s6, 0xbbeb3482
	v_add_f16_e32 v15, v32, v22
	v_pk_add_f16 v5, v14, v5 op_sel:[1,0]
	v_pk_fma_f16 v11, v17, s26, v23 op_sel_hi:[0,1,1] neg_lo:[0,0,1] neg_hi:[0,0,1]
	v_pk_mul_f16 v25, v18, s6 op_sel_hi:[0,1]
	s_mov_b32 s6, 0xba0c3beb
	v_add_f16_e32 v13, v33, v24
	v_sub_f16_e32 v9, v21, v37
	v_pk_add_f16 v5, v5, v11
	v_pk_fma_f16 v11, v15, s18, v25 op_sel_hi:[0,1,1] neg_lo:[0,0,1] neg_hi:[0,0,1]
	v_pk_mul_f16 v34, v16, s6 op_sel_hi:[0,1]
	s_mov_b32 s6, 0xb4823853
	v_add_f16_e32 v8, v27, v14
	v_pk_add_f16 v5, v5, v11
	v_pk_fma_f16 v11, v13, s17, v34 op_sel_hi:[0,1,1] neg_lo:[0,0,1] neg_hi:[0,0,1]
	v_pk_mul_f16 v21, v9, s6 op_sel_hi:[0,1]
	v_pk_add_f16 v46, v85, v76
	v_pk_add_f16 v5, v11, v5
	v_pk_fma_f16 v11, v8, s24, v21 op_sel_hi:[0,1,1] neg_lo:[0,0,1] neg_hi:[0,0,1]
	v_pk_add_f16 v11, v5, v11
	v_add_u32_e32 v5, 55, v7
	v_alignbit_b32 v38, v44, v46, 16
	v_alignbit_b32 v37, v46, v74, 16
	v_pack_b32_f16 v36, v73, v74
	s_waitcnt lgkmcnt(0)
	; wave barrier
	s_waitcnt lgkmcnt(0)
	ds_write_b128 v6, v[36:39]
	ds_write_b32 v6, v45 offset:16
	ds_write_b16 v6, v58 offset:20
	s_and_saveexec_b64 s[6:7], s[2:3]
	s_cbranch_execz .LBB0_21
; %bb.20:
	v_pack_b32_f16 v36, v28, v28
	v_add_f16_sdwa v30, v14, v30 dst_sel:DWORD dst_unused:UNUSED_PAD src0_sel:WORD_1 src1_sel:DWORD
	v_mul_f16_e32 v28, 0xb482, v28
	v_pack_b32_f16 v6, v29, v29
	v_pk_mul_f16 v35, v29, s22 op_sel_hi:[0,1]
	v_pack_b32_f16 v44, v26, v26
	v_add_f16_e32 v30, v30, v31
	v_mul_f16_e32 v31, 0xbbad, v29
	v_fma_f16 v29, v29, s9, v28
	v_mul_f16_e32 v26, 0x3853, v26
	v_pack_b32_f16 v38, v17, v17
	v_pk_mul_f16 v39, v17, s26 op_sel_hi:[0,1]
	v_pack_b32_f16 v47, v18, v18
	v_add_f16_e32 v30, v30, v32
	v_add_f16_sdwa v29, v14, v29 dst_sel:DWORD dst_unused:UNUSED_PAD src0_sel:WORD_1 src1_sel:DWORD
	v_mul_f16_e32 v32, 0x3abb, v17
	v_fma_f16 v17, v17, s14, v26
	v_mul_f16_e32 v18, 0xba0c, v18
	v_pack_b32_f16 v45, v15, v15
	v_pk_mul_f16 v46, v15, s18 op_sel_hi:[0,1]
	v_pack_b32_f16 v54, v16, v16
	v_add_f16_e32 v17, v29, v17
	v_mul_f16_e32 v29, 0xb93d, v15
	v_fma_f16 v15, v15, s15, v18
	v_mul_f16_e32 v16, 0x3b47, v16
	v_pack_b32_f16 v48, v13, v13
	v_pk_mul_f16 v49, v13, s17 op_sel_hi:[0,1]
	v_add_f16_e32 v30, v30, v33
	v_add_f16_e32 v15, v17, v15
	v_mul_f16_e32 v17, 0x36a6, v13
	v_fma_f16 v13, v13, s16, v16
	v_add_f16_e32 v15, v13, v15
	v_bfi_b32 v13, s28, v30, v35
	v_bfi_b32 v27, s28, v27, v12
	v_pk_add_f16 v23, v39, v23
	v_pk_add_f16 v13, v13, v27
	v_add_f16_e32 v12, v35, v12
	v_pk_add_f16 v25, v46, v25
	v_pk_add_f16 v13, v13, v14
	v_bfi_b32 v24, s28, v24, v23
	v_add_f16_sdwa v12, v14, v12 dst_sel:DWORD dst_unused:UNUSED_PAD src0_sel:WORD_1 src1_sel:DWORD
	v_pk_add_f16 v33, v49, v34
	v_pk_add_f16 v13, v24, v13
	v_bfi_b32 v22, s28, v22, v25
	v_add_f16_e32 v12, v12, v23
	v_pk_mul_f16 v60, v8, s24 op_sel_hi:[0,1]
	v_pk_add_f16 v13, v22, v13
	v_bfi_b32 v20, s28, v20, v33
	v_add_f16_e32 v12, v12, v25
	v_pk_add_f16 v13, v20, v13
	v_pk_add_f16 v20, v60, v21
	v_add_f16_e32 v12, v33, v12
	s_mov_b32 s2, 0x7060302
	v_bfi_b32 v19, s28, v19, v20
	v_add_f16_e32 v12, v12, v20
	v_pk_mul_f16 v20, v36, s19
	v_perm_b32 v37, v14, v14, s2
	v_pk_add_f16 v13, v19, v13
	v_pk_mul_f16 v19, v6, s17
	v_pk_fma_f16 v6, v6, s17, v20
	v_pk_mul_f16 v22, v44, s23
	v_pk_add_f16 v6, v37, v6
	v_pk_mul_f16 v21, v38, s18
	v_pk_fma_f16 v23, v38, s18, v22
	v_pk_mul_f16 v24, v47, s25
	v_sub_f16_e32 v36, v19, v20
	v_pk_add_f16 v6, v6, v23
	v_pk_mul_f16 v23, v45, s22
	v_pk_fma_f16 v25, v45, s22, v24
	v_pk_mul_f16 v27, v54, s27
	v_sub_f16_e32 v35, v21, v22
	v_add_f16_sdwa v14, v14, v36 dst_sel:DWORD dst_unused:UNUSED_PAD src0_sel:WORD_1 src1_sel:DWORD
	v_pack_b32_f16 v58, v8, v8
	v_pack_b32_f16 v72, v9, v9
	v_pk_add_f16 v6, v6, v25
	v_pk_mul_f16 v25, v48, s24
	v_pk_fma_f16 v30, v48, s24, v27
	v_add_f16_e32 v14, v14, v35
	v_sub_f16_e32 v35, v23, v24
	v_pk_add_f16 v6, v30, v6
	v_pk_mul_f16 v30, v58, s26
	v_pk_mul_f16 v33, v72, s29
	v_add_f16_e32 v14, v14, v35
	v_sub_f16_e32 v35, v25, v27
	v_add_f16_e32 v14, v35, v14
	v_sub_f16_e32 v35, v30, v33
	v_mul_f16_e32 v9, 0xbbeb, v9
	v_add_f16_e32 v35, v14, v35
	v_mul_f16_e32 v14, 0xb08e, v8
	v_fma_f16 v8, v8, s8, v9
	v_add_f16_e32 v8, v15, v8
	v_bfi_b32 v15, s28, v31, v19
	v_bfi_b32 v19, s28, v28, v20
	v_pk_add_f16 v15, v15, v19 neg_lo:[0,1] neg_hi:[0,1]
	v_bfi_b32 v19, s28, v32, v21
	v_bfi_b32 v20, s28, v26, v22
	v_pk_add_f16 v15, v37, v15
	v_pk_add_f16 v19, v19, v20 neg_lo:[0,1] neg_hi:[0,1]
	v_pk_add_f16 v15, v15, v19
	v_bfi_b32 v19, s28, v29, v23
	v_bfi_b32 v18, s28, v18, v24
	v_pk_add_f16 v18, v19, v18 neg_lo:[0,1] neg_hi:[0,1]
	v_bfi_b32 v17, s28, v17, v25
	v_bfi_b32 v16, s28, v16, v27
	v_pk_fma_f16 v34, v58, s26, v33
	v_pk_add_f16 v15, v15, v18
	v_pk_add_f16 v16, v17, v16 neg_lo:[0,1] neg_hi:[0,1]
	v_bfi_b32 v14, s28, v14, v30
	v_bfi_b32 v9, s28, v9, v33
	v_pk_add_f16 v6, v6, v34
	v_pk_add_f16 v15, v16, v15
	v_pk_add_f16 v9, v14, v9 neg_lo:[0,1] neg_hi:[0,1]
	v_pk_add_f16 v16, v15, v9
	v_mad_u32_u24 v9, v5, 22, 0
	v_alignbit_b32 v15, v8, v6, 16
	v_pack_b32_f16 v14, v12, v6
	ds_write_b128 v9, v[13:16]
	ds_write_b16 v9, v35 offset:16
	ds_write_b32 v9, v11 offset:18
.LBB0_21:
	s_or_b64 exec, exec, s[6:7]
	s_waitcnt lgkmcnt(0)
	; wave barrier
	s_waitcnt lgkmcnt(0)
	ds_read_u16 v15, v0
	ds_read_u16 v14, v0 offset:110
	ds_read_u16 v13, v0 offset:220
	;; [unrolled: 1-line block ×19, first 2 shown]
                                        ; implicit-def: $vgpr19
                                        ; implicit-def: $vgpr18
                                        ; implicit-def: $vgpr17
	s_and_saveexec_b64 s[2:3], s[0:1]
	s_cbranch_execz .LBB0_23
; %bb.22:
	ds_read_u16 v6, v0 offset:440
	ds_read_u16 v8, v0 offset:902
	;; [unrolled: 1-line block ×5, first 2 shown]
	s_mov_b32 s6, 0x5040100
	s_waitcnt lgkmcnt(3)
	v_perm_b32 v11, v8, v6, s6
.LBB0_23:
	s_or_b64 exec, exec, s[2:3]
	s_movk_i32 s2, 0x75
	v_mul_lo_u16_sdwa v8, v7, s2 dst_sel:DWORD dst_unused:UNUSED_PAD src0_sel:BYTE_0 src1_sel:DWORD
	v_sub_u16_sdwa v9, v7, v8 dst_sel:DWORD dst_unused:UNUSED_PAD src0_sel:DWORD src1_sel:BYTE_1
	v_lshrrev_b16_e32 v9, 1, v9
	v_and_b32_e32 v9, 0x7f, v9
	v_add_u16_sdwa v8, v9, v8 dst_sel:DWORD dst_unused:UNUSED_PAD src0_sel:DWORD src1_sel:BYTE_1
	v_lshrrev_b16_e32 v87, 3, v8
	v_mul_lo_u16_sdwa v39, v5, s2 dst_sel:DWORD dst_unused:UNUSED_PAD src0_sel:BYTE_0 src1_sel:DWORD
	v_mul_lo_u16_e32 v8, 11, v87
	v_sub_u16_sdwa v35, v5, v39 dst_sel:DWORD dst_unused:UNUSED_PAD src0_sel:DWORD src1_sel:BYTE_1
	v_sub_u16_e32 v88, v7, v8
	v_mov_b32_e32 v9, 4
	v_lshrrev_b16_e32 v35, 1, v35
	v_lshlrev_b32_sdwa v8, v9, v88 dst_sel:DWORD dst_unused:UNUSED_PAD src0_sel:DWORD src1_sel:BYTE_0
	v_and_b32_e32 v44, 0x7f, v35
	global_load_dwordx4 v[35:38], v8, s[12:13]
	v_add_u16_sdwa v8, v44, v39 dst_sel:DWORD dst_unused:UNUSED_PAD src0_sel:DWORD src1_sel:BYTE_1
	v_lshrrev_b16_e32 v89, 3, v8
	v_mul_lo_u16_e32 v8, 11, v89
	v_sub_u16_e32 v90, v5, v8
	v_add_u32_e32 v6, 0x6e, v7
	v_lshlrev_b32_sdwa v8, v9, v90 dst_sel:DWORD dst_unused:UNUSED_PAD src0_sel:DWORD src1_sel:BYTE_0
	global_load_dwordx4 v[44:47], v8, s[12:13]
	v_mul_lo_u16_sdwa v8, v6, s2 dst_sel:DWORD dst_unused:UNUSED_PAD src0_sel:BYTE_0 src1_sel:DWORD
	v_sub_u16_sdwa v39, v6, v8 dst_sel:DWORD dst_unused:UNUSED_PAD src0_sel:DWORD src1_sel:BYTE_1
	v_lshrrev_b16_e32 v39, 1, v39
	v_and_b32_e32 v39, 0x7f, v39
	v_add_u16_sdwa v8, v39, v8 dst_sel:DWORD dst_unused:UNUSED_PAD src0_sel:DWORD src1_sel:BYTE_1
	v_lshrrev_b16_e32 v91, 3, v8
	v_mul_lo_u16_e32 v8, 11, v91
	v_sub_u16_e32 v92, v6, v8
	v_lshlrev_b32_sdwa v8, v9, v92 dst_sel:DWORD dst_unused:UNUSED_PAD src0_sel:DWORD src1_sel:BYTE_0
	global_load_dwordx4 v[75:78], v8, s[12:13]
	v_add_u32_e32 v8, 0xa5, v7
	v_mul_lo_u16_sdwa v39, v8, s2 dst_sel:DWORD dst_unused:UNUSED_PAD src0_sel:BYTE_0 src1_sel:DWORD
	v_sub_u16_sdwa v48, v8, v39 dst_sel:DWORD dst_unused:UNUSED_PAD src0_sel:DWORD src1_sel:BYTE_1
	v_lshrrev_b16_e32 v48, 1, v48
	v_and_b32_e32 v48, 0x7f, v48
	v_add_u16_sdwa v39, v48, v39 dst_sel:DWORD dst_unused:UNUSED_PAD src0_sel:DWORD src1_sel:BYTE_1
	v_lshrrev_b16_e32 v93, 3, v39
	v_mul_lo_u16_e32 v39, 11, v93
	v_sub_u16_e32 v94, v8, v39
	v_lshlrev_b32_sdwa v9, v9, v94 dst_sel:DWORD dst_unused:UNUSED_PAD src0_sel:DWORD src1_sel:BYTE_0
	global_load_dwordx4 v[79:82], v9, s[12:13]
	v_add_u32_e32 v9, 0xdc, v7
	s_mov_b32 s2, 0xba2f
	v_mul_u32_u24_sdwa v39, v9, s2 dst_sel:DWORD dst_unused:UNUSED_PAD src0_sel:WORD_0 src1_sel:DWORD
	v_lshrrev_b32_e32 v39, 19, v39
	v_mul_lo_u16_e32 v39, 11, v39
	v_sub_u16_e32 v95, v9, v39
	v_lshlrev_b32_e32 v39, 4, v95
	global_load_dwordx4 v[83:86], v39, s[12:13]
	s_movk_i32 s7, 0x3b9c
	s_mov_b32 s9, 0xbb9c
	s_movk_i32 s6, 0x38b4
	s_mov_b32 s14, 0xb8b4
	s_movk_i32 s8, 0x34f2
	s_waitcnt lgkmcnt(0)
	; wave barrier
	s_waitcnt vmcnt(4) lgkmcnt(0)
	v_mul_f16_sdwa v60, v33, v37 dst_sel:DWORD dst_unused:UNUSED_PAD src0_sel:DWORD src1_sel:WORD_1
	v_mul_f16_sdwa v97, v34, v38 dst_sel:DWORD dst_unused:UNUSED_PAD src0_sel:DWORD src1_sel:WORD_1
	;; [unrolled: 1-line block ×3, first 2 shown]
	v_fma_f16 v74, v70, v37, -v60
	v_mul_f16_sdwa v48, v69, v35 dst_sel:DWORD dst_unused:UNUSED_PAD src0_sel:DWORD src1_sel:WORD_1
	v_mul_f16_sdwa v96, v70, v37 dst_sel:DWORD dst_unused:UNUSED_PAD src0_sel:DWORD src1_sel:WORD_1
	v_fma_f16 v71, v71, v38, -v97
	s_waitcnt vmcnt(3)
	v_mul_f16_sdwa v105, v31, v47 dst_sel:DWORD dst_unused:UNUSED_PAD src0_sel:DWORD src1_sel:WORD_1
	v_mul_f16_sdwa v106, v68, v47 dst_sel:DWORD dst_unused:UNUSED_PAD src0_sel:DWORD src1_sel:WORD_1
	v_fma_f16 v60, v68, v47, -v105
	v_fma_f16 v47, v31, v47, v106
	v_fma_f16 v70, v34, v38, v98
	v_mul_f16_sdwa v39, v32, v35 dst_sel:DWORD dst_unused:UNUSED_PAD src0_sel:DWORD src1_sel:WORD_1
	v_mul_f16_sdwa v49, v29, v36 dst_sel:DWORD dst_unused:UNUSED_PAD src0_sel:DWORD src1_sel:WORD_1
	;; [unrolled: 1-line block ×5, first 2 shown]
	s_waitcnt vmcnt(2)
	v_mul_f16_sdwa v110, v59, v76 dst_sel:DWORD dst_unused:UNUSED_PAD src0_sel:DWORD src1_sel:WORD_1
	v_mul_f16_sdwa v109, v23, v76 dst_sel:DWORD dst_unused:UNUSED_PAD src0_sel:DWORD src1_sel:WORD_1
	v_fma_f16 v31, v23, v76, v110
	v_mul_f16_sdwa v23, v26, v77 dst_sel:DWORD dst_unused:UNUSED_PAD src0_sel:DWORD src1_sel:WORD_1
	v_fma_f16 v38, v63, v77, -v23
	v_mul_f16_sdwa v23, v63, v77 dst_sel:DWORD dst_unused:UNUSED_PAD src0_sel:DWORD src1_sel:WORD_1
	v_mul_f16_sdwa v101, v25, v45 dst_sel:DWORD dst_unused:UNUSED_PAD src0_sel:DWORD src1_sel:WORD_1
	v_mul_f16_sdwa v102, v62, v45 dst_sel:DWORD dst_unused:UNUSED_PAD src0_sel:DWORD src1_sel:WORD_1
	v_mul_f16_sdwa v103, v30, v46 dst_sel:DWORD dst_unused:UNUSED_PAD src0_sel:DWORD src1_sel:WORD_1
	v_mul_f16_sdwa v104, v67, v46 dst_sel:DWORD dst_unused:UNUSED_PAD src0_sel:DWORD src1_sel:WORD_1
	v_fma_f16 v58, v32, v35, v48
	v_fma_f16 v32, v26, v77, v23
	v_mul_f16_sdwa v23, v27, v78 dst_sel:DWORD dst_unused:UNUSED_PAD src0_sel:DWORD src1_sel:WORD_1
	v_fma_f16 v72, v69, v35, -v39
	v_fma_f16 v73, v66, v36, -v49
	v_fma_f16 v66, v29, v36, v54
	v_fma_f16 v48, v65, v44, -v99
	v_fma_f16 v39, v28, v44, v100
	;; [unrolled: 2-line block ×4, first 2 shown]
	v_fma_f16 v46, v64, v78, -v23
	v_mul_f16_sdwa v23, v64, v78 dst_sel:DWORD dst_unused:UNUSED_PAD src0_sel:DWORD src1_sel:WORD_1
	v_fma_f16 v34, v27, v78, v23
	s_waitcnt vmcnt(1)
	v_mul_f16_sdwa v23, v20, v79 dst_sel:DWORD dst_unused:UNUSED_PAD src0_sel:DWORD src1_sel:WORD_1
	v_mul_f16_sdwa v108, v61, v75 dst_sel:DWORD dst_unused:UNUSED_PAD src0_sel:DWORD src1_sel:WORD_1
	v_fma_f16 v28, v55, v79, -v23
	v_mul_f16_sdwa v23, v55, v79 dst_sel:DWORD dst_unused:UNUSED_PAD src0_sel:DWORD src1_sel:WORD_1
	v_mul_f16_sdwa v107, v24, v75 dst_sel:DWORD dst_unused:UNUSED_PAD src0_sel:DWORD src1_sel:WORD_1
	v_fma_f16 v29, v24, v75, v108
	v_fma_f16 v24, v20, v79, v23
	v_mul_f16_sdwa v20, v22, v80 dst_sel:DWORD dst_unused:UNUSED_PAD src0_sel:DWORD src1_sel:WORD_1
	v_fma_f16 v30, v57, v80, -v20
	v_mul_f16_sdwa v20, v57, v80 dst_sel:DWORD dst_unused:UNUSED_PAD src0_sel:DWORD src1_sel:WORD_1
	v_fma_f16 v25, v22, v80, v20
	v_mul_f16_sdwa v20, v16, v81 dst_sel:DWORD dst_unused:UNUSED_PAD src0_sel:DWORD src1_sel:WORD_1
	v_fma_f16 v69, v33, v37, v96
	v_fma_f16 v33, v53, v81, -v20
	v_mul_f16_sdwa v20, v53, v81 dst_sel:DWORD dst_unused:UNUSED_PAD src0_sel:DWORD src1_sel:WORD_1
	v_fma_f16 v26, v16, v81, v20
	v_mul_f16_sdwa v16, v21, v82 dst_sel:DWORD dst_unused:UNUSED_PAD src0_sel:DWORD src1_sel:WORD_1
	v_fma_f16 v35, v56, v82, -v16
	v_mul_f16_sdwa v16, v56, v82 dst_sel:DWORD dst_unused:UNUSED_PAD src0_sel:DWORD src1_sel:WORD_1
	v_fma_f16 v27, v21, v82, v16
	v_lshrrev_b32_e32 v21, 16, v11
	v_lshrrev_b32_e32 v16, 16, v10
	s_waitcnt vmcnt(0)
	v_mul_f16_sdwa v20, v21, v83 dst_sel:DWORD dst_unused:UNUSED_PAD src0_sel:DWORD src1_sel:WORD_1
	v_fma_f16 v20, v16, v83, -v20
	v_mul_f16_sdwa v16, v16, v83 dst_sel:DWORD dst_unused:UNUSED_PAD src0_sel:DWORD src1_sel:WORD_1
	v_mul_f16_sdwa v22, v52, v84 dst_sel:DWORD dst_unused:UNUSED_PAD src0_sel:DWORD src1_sel:WORD_1
	v_fma_f16 v16, v21, v83, v16
	v_mul_f16_sdwa v21, v17, v84 dst_sel:DWORD dst_unused:UNUSED_PAD src0_sel:DWORD src1_sel:WORD_1
	v_fma_f16 v17, v17, v84, v22
	v_mul_f16_sdwa v22, v18, v85 dst_sel:DWORD dst_unused:UNUSED_PAD src0_sel:DWORD src1_sel:WORD_1
	v_fma_f16 v22, v51, v85, -v22
	v_mul_f16_sdwa v23, v51, v85 dst_sel:DWORD dst_unused:UNUSED_PAD src0_sel:DWORD src1_sel:WORD_1
	v_add_f16_e32 v51, v73, v74
	v_fma_f16 v21, v52, v84, -v21
	v_fma_f16 v51, v51, -0.5, v43
	v_sub_f16_e32 v52, v58, v70
	v_fma_f16 v53, v52, s7, v51
	v_sub_f16_e32 v55, v66, v69
	v_sub_f16_e32 v56, v72, v73
	;; [unrolled: 1-line block ×3, first 2 shown]
	v_fma_f16 v51, v52, s9, v51
	v_fma_f16 v18, v18, v85, v23
	v_mul_f16_sdwa v23, v19, v86 dst_sel:DWORD dst_unused:UNUSED_PAD src0_sel:DWORD src1_sel:WORD_1
	v_fma_f16 v53, v55, s6, v53
	v_add_f16_e32 v56, v56, v57
	v_fma_f16 v51, v55, s14, v51
	v_fma_f16 v23, v50, v86, -v23
	v_mul_f16_sdwa v50, v50, v86 dst_sel:DWORD dst_unused:UNUSED_PAD src0_sel:DWORD src1_sel:WORD_1
	v_fma_f16 v53, v56, s8, v53
	v_fma_f16 v51, v56, s8, v51
	v_add_f16_e32 v56, v72, v71
	v_fma_f16 v19, v19, v86, v50
	v_add_f16_e32 v50, v43, v72
	v_fma_f16 v43, v56, -0.5, v43
	v_fma_f16 v37, v59, v76, -v109
	v_fma_f16 v56, v55, s9, v43
	v_sub_f16_e32 v57, v73, v72
	v_sub_f16_e32 v59, v74, v71
	v_fma_f16 v43, v55, s7, v43
	v_fma_f16 v56, v52, s6, v56
	v_add_f16_e32 v57, v57, v59
	v_fma_f16 v43, v52, s14, v43
	v_add_f16_e32 v55, v49, v54
	v_fma_f16 v56, v57, s8, v56
	v_fma_f16 v43, v57, s8, v43
	v_fma_f16 v55, v55, -0.5, v42
	v_sub_f16_e32 v57, v39, v47
	v_fma_f16 v36, v61, v75, -v107
	v_fma_f16 v59, v57, s7, v55
	v_sub_f16_e32 v61, v44, v45
	v_sub_f16_e32 v62, v48, v49
	;; [unrolled: 1-line block ×3, first 2 shown]
	v_fma_f16 v55, v57, s9, v55
	v_fma_f16 v59, v61, s6, v59
	v_add_f16_e32 v62, v62, v63
	v_fma_f16 v55, v61, s14, v55
	v_fma_f16 v59, v62, s8, v59
	v_fma_f16 v55, v62, s8, v55
	v_add_f16_e32 v62, v48, v60
	v_add_f16_e32 v52, v42, v48
	v_fma_f16 v42, v62, -0.5, v42
	v_fma_f16 v62, v61, s9, v42
	v_sub_f16_e32 v63, v49, v48
	v_sub_f16_e32 v64, v54, v60
	v_fma_f16 v42, v61, s7, v42
	v_add_f16_e32 v63, v63, v64
	v_fma_f16 v42, v57, s14, v42
	v_fma_f16 v62, v57, s6, v62
	;; [unrolled: 1-line block ×3, first 2 shown]
	v_add_f16_e32 v42, v41, v36
	v_add_f16_e32 v42, v42, v37
	;; [unrolled: 1-line block ×5, first 2 shown]
	v_fma_f16 v62, v63, s8, v62
	v_fma_f16 v42, v42, -0.5, v41
	v_sub_f16_e32 v63, v29, v34
	v_fma_f16 v64, v63, s7, v42
	v_sub_f16_e32 v65, v31, v32
	v_sub_f16_e32 v67, v36, v37
	;; [unrolled: 1-line block ×3, first 2 shown]
	v_fma_f16 v42, v63, s9, v42
	v_fma_f16 v64, v65, s6, v64
	v_add_f16_e32 v67, v67, v68
	v_fma_f16 v42, v65, s14, v42
	v_fma_f16 v64, v67, s8, v64
	;; [unrolled: 1-line block ×3, first 2 shown]
	v_add_f16_e32 v42, v36, v46
	v_fma_f16 v41, v42, -0.5, v41
	v_fma_f16 v42, v65, s9, v41
	v_sub_f16_e32 v68, v37, v36
	v_sub_f16_e32 v75, v38, v46
	v_fma_f16 v41, v65, s7, v41
	v_add_f16_e32 v68, v68, v75
	v_fma_f16 v41, v63, s14, v41
	v_fma_f16 v42, v63, s6, v42
	;; [unrolled: 1-line block ×3, first 2 shown]
	v_add_f16_e32 v41, v40, v28
	v_add_f16_e32 v41, v41, v30
	;; [unrolled: 1-line block ×5, first 2 shown]
	v_fma_f16 v75, v68, s8, v42
	v_fma_f16 v41, v41, -0.5, v40
	v_sub_f16_e32 v42, v24, v27
	v_fma_f16 v68, v42, s7, v41
	v_sub_f16_e32 v76, v25, v26
	v_sub_f16_e32 v77, v28, v30
	;; [unrolled: 1-line block ×3, first 2 shown]
	v_fma_f16 v41, v42, s9, v41
	v_fma_f16 v68, v76, s6, v68
	v_add_f16_e32 v77, v77, v78
	v_fma_f16 v41, v76, s14, v41
	v_fma_f16 v68, v77, s8, v68
	;; [unrolled: 1-line block ×3, first 2 shown]
	v_add_f16_e32 v41, v28, v35
	v_fma_f16 v40, v41, -0.5, v40
	v_fma_f16 v41, v76, s9, v40
	v_sub_f16_e32 v78, v30, v28
	v_sub_f16_e32 v79, v33, v35
	v_add_f16_e32 v50, v50, v73
	v_fma_f16 v41, v42, s6, v41
	v_add_f16_e32 v78, v78, v79
	v_fma_f16 v40, v76, s7, v40
	v_mov_b32_e32 v76, 1
	v_add_f16_e32 v50, v50, v74
	v_fma_f16 v79, v78, s8, v41
	v_fma_f16 v40, v42, s14, v40
	v_mul_u32_u24_e32 v41, 0x6e, v87
	v_lshlrev_b32_sdwa v42, v76, v88 dst_sel:DWORD dst_unused:UNUSED_PAD src0_sel:DWORD src1_sel:BYTE_0
	v_add_f16_e32 v50, v50, v71
	v_add3_u32 v41, 0, v41, v42
	ds_write_b16 v41, v50
	ds_write_b16 v41, v53 offset:22
	ds_write_b16 v41, v56 offset:44
	ds_write_b16 v41, v43 offset:66
	ds_write_b16 v41, v51 offset:88
	v_mul_u32_u24_e32 v42, 0x6e, v89
	v_lshlrev_b32_sdwa v43, v76, v90 dst_sel:DWORD dst_unused:UNUSED_PAD src0_sel:DWORD src1_sel:BYTE_0
	v_add_f16_e32 v52, v52, v49
	v_add3_u32 v42, 0, v42, v43
	v_mul_u32_u24_e32 v43, 0x6e, v91
	v_lshlrev_b32_sdwa v50, v76, v92 dst_sel:DWORD dst_unused:UNUSED_PAD src0_sel:DWORD src1_sel:BYTE_0
	v_add_f16_e32 v52, v52, v54
	v_add3_u32 v50, 0, v43, v50
	v_mul_u32_u24_e32 v43, 0x6e, v93
	v_lshlrev_b32_sdwa v51, v76, v94 dst_sel:DWORD dst_unused:UNUSED_PAD src0_sel:DWORD src1_sel:BYTE_0
	v_add_f16_e32 v52, v52, v60
	v_fma_f16 v40, v78, s8, v40
	v_add3_u32 v51, 0, v43, v51
	ds_write_b16 v42, v52
	ds_write_b16 v42, v59 offset:22
	ds_write_b16 v42, v62 offset:44
	ds_write_b16 v42, v57 offset:66
	ds_write_b16 v42, v55 offset:88
	ds_write_b16 v50, v61
	ds_write_b16 v50, v64 offset:22
	ds_write_b16 v50, v75 offset:44
	ds_write_b16 v50, v63 offset:66
	ds_write_b16 v50, v67 offset:88
	;; [unrolled: 5-line block ×3, first 2 shown]
	v_lshl_add_u32 v40, v95, 1, 0
	s_and_saveexec_b64 s[2:3], s[0:1]
	s_cbranch_execz .LBB0_25
; %bb.24:
	v_sub_f16_e32 v43, v21, v20
	v_sub_f16_e32 v52, v22, v23
	v_add_f16_e32 v43, v43, v52
	v_add_f16_e32 v52, v20, v23
	v_fma_f16 v52, v52, -0.5, v10
	v_sub_f16_e32 v53, v17, v18
	v_fma_f16 v55, v53, s7, v52
	v_sub_f16_e32 v56, v16, v19
	v_fma_f16 v52, v53, s9, v52
	v_fma_f16 v55, v56, s14, v55
	;; [unrolled: 1-line block ×5, first 2 shown]
	v_sub_f16_e32 v52, v20, v21
	v_sub_f16_e32 v57, v23, v22
	v_add_f16_e32 v52, v52, v57
	v_add_f16_e32 v57, v21, v22
	v_fma_f16 v57, v57, -0.5, v10
	v_add_f16_e32 v10, v10, v20
	v_add_f16_e32 v10, v10, v21
	v_fma_f16 v59, v56, s9, v57
	v_fma_f16 v56, v56, s7, v57
	v_add_f16_e32 v10, v10, v22
	v_fma_f16 v59, v53, s14, v59
	v_fma_f16 v53, v53, s6, v56
	;; [unrolled: 3-line block ×3, first 2 shown]
	ds_write_b16 v40, v10 offset:2200
	ds_write_b16 v40, v52 offset:2222
	;; [unrolled: 1-line block ×5, first 2 shown]
.LBB0_25:
	s_or_b64 exec, exec, s[2:3]
	v_add_f16_e32 v10, v15, v58
	v_add_f16_e32 v10, v10, v66
	;; [unrolled: 1-line block ×5, first 2 shown]
	v_fma_f16 v10, v10, -0.5, v15
	v_sub_f16_e32 v43, v72, v71
	v_fma_f16 v53, v43, s9, v10
	v_sub_f16_e32 v55, v73, v74
	v_sub_f16_e32 v56, v58, v66
	;; [unrolled: 1-line block ×3, first 2 shown]
	v_fma_f16 v10, v43, s7, v10
	v_fma_f16 v53, v55, s14, v53
	v_add_f16_e32 v56, v56, v57
	v_fma_f16 v10, v55, s6, v10
	v_fma_f16 v53, v56, s8, v53
	v_fma_f16 v56, v56, s8, v10
	v_add_f16_e32 v10, v58, v70
	v_fma_f16 v10, v10, -0.5, v15
	v_fma_f16 v15, v55, s7, v10
	v_sub_f16_e32 v57, v66, v58
	v_sub_f16_e32 v58, v69, v70
	v_fma_f16 v10, v55, s9, v10
	v_add_f16_e32 v57, v57, v58
	v_fma_f16 v10, v43, s6, v10
	v_fma_f16 v55, v57, s8, v10
	v_add_f16_e32 v10, v14, v39
	v_add_f16_e32 v10, v10, v44
	v_fma_f16 v15, v43, s14, v15
	v_add_f16_e32 v10, v10, v45
	v_fma_f16 v58, v57, s8, v15
	v_add_f16_e32 v57, v10, v47
	v_add_f16_e32 v10, v44, v45
	v_fma_f16 v10, v10, -0.5, v14
	v_sub_f16_e32 v15, v48, v60
	v_fma_f16 v43, v15, s9, v10
	v_sub_f16_e32 v48, v49, v54
	v_sub_f16_e32 v49, v39, v44
	;; [unrolled: 1-line block ×3, first 2 shown]
	v_fma_f16 v10, v15, s7, v10
	v_fma_f16 v43, v48, s14, v43
	v_add_f16_e32 v49, v49, v54
	v_fma_f16 v10, v48, s6, v10
	v_fma_f16 v54, v49, s8, v43
	v_fma_f16 v49, v49, s8, v10
	v_add_f16_e32 v10, v39, v47
	v_fma_f16 v10, v10, -0.5, v14
	v_fma_f16 v14, v48, s7, v10
	v_sub_f16_e32 v39, v44, v39
	v_sub_f16_e32 v43, v45, v47
	v_fma_f16 v10, v48, s9, v10
	v_add_f16_e32 v39, v39, v43
	v_fma_f16 v10, v15, s6, v10
	v_fma_f16 v45, v39, s8, v10
	v_add_f16_e32 v10, v13, v29
	v_add_f16_e32 v10, v10, v31
	;; [unrolled: 1-line block ×3, first 2 shown]
	v_fma_f16 v14, v15, s14, v14
	v_add_f16_e32 v47, v10, v34
	v_add_f16_e32 v10, v31, v32
	v_fma_f16 v44, v39, s8, v14
	v_fma_f16 v10, v10, -0.5, v13
	v_sub_f16_e32 v14, v36, v46
	v_fma_f16 v15, v14, s9, v10
	v_sub_f16_e32 v36, v37, v38
	v_sub_f16_e32 v37, v29, v31
	;; [unrolled: 1-line block ×3, first 2 shown]
	v_fma_f16 v10, v14, s7, v10
	v_add_f16_e32 v37, v37, v38
	v_fma_f16 v10, v36, s6, v10
	v_fma_f16 v48, v37, s8, v10
	v_add_f16_e32 v10, v29, v34
	v_fma_f16 v15, v36, s14, v15
	v_fma_f16 v10, v10, -0.5, v13
	v_fma_f16 v46, v37, s8, v15
	v_fma_f16 v13, v36, s7, v10
	v_sub_f16_e32 v15, v31, v29
	v_sub_f16_e32 v29, v32, v34
	v_fma_f16 v10, v36, s9, v10
	v_add_f16_e32 v15, v15, v29
	v_fma_f16 v10, v14, s6, v10
	v_fma_f16 v60, v15, s8, v10
	v_add_f16_e32 v10, v12, v24
	v_add_f16_e32 v10, v10, v25
	;; [unrolled: 1-line block ×3, first 2 shown]
	v_fma_f16 v13, v14, s14, v13
	v_add_f16_e32 v61, v10, v27
	v_add_f16_e32 v10, v25, v26
	v_fma_f16 v59, v15, s8, v13
	v_fma_f16 v10, v10, -0.5, v12
	v_sub_f16_e32 v13, v28, v35
	v_fma_f16 v14, v13, s9, v10
	v_sub_f16_e32 v15, v30, v33
	v_sub_f16_e32 v28, v24, v25
	;; [unrolled: 1-line block ×3, first 2 shown]
	v_fma_f16 v10, v13, s7, v10
	v_add_f16_e32 v28, v28, v29
	v_fma_f16 v10, v15, s6, v10
	v_fma_f16 v63, v28, s8, v10
	v_add_f16_e32 v10, v24, v27
	v_fma_f16 v14, v15, s14, v14
	v_fma_f16 v10, v10, -0.5, v12
	v_fma_f16 v62, v28, s8, v14
	v_fma_f16 v12, v15, s7, v10
	v_sub_f16_e32 v14, v25, v24
	v_sub_f16_e32 v24, v26, v27
	v_fma_f16 v10, v15, s9, v10
	v_fma_f16 v12, v13, s14, v12
	v_add_f16_e32 v14, v14, v24
	v_fma_f16 v10, v13, s6, v10
	v_fma_f16 v64, v14, s8, v12
	;; [unrolled: 1-line block ×3, first 2 shown]
	s_waitcnt lgkmcnt(0)
	; wave barrier
	s_waitcnt lgkmcnt(0)
	v_lshl_add_u32 v10, v7, 1, 0
	ds_read_u16 v14, v0
	ds_read_u16 v13, v0 offset:110
	ds_read_u16 v33, v0 offset:440
	;; [unrolled: 1-line block ×20, first 2 shown]
	s_waitcnt lgkmcnt(0)
	; wave barrier
	s_waitcnt lgkmcnt(0)
	ds_write_b16 v41, v52
	ds_write_b16 v41, v53 offset:22
	ds_write_b16 v41, v58 offset:44
	ds_write_b16 v41, v55 offset:66
	ds_write_b16 v41, v56 offset:88
	ds_write_b16 v42, v57
	ds_write_b16 v42, v54 offset:22
	ds_write_b16 v42, v44 offset:44
	ds_write_b16 v42, v45 offset:66
	ds_write_b16 v42, v49 offset:88
	;; [unrolled: 5-line block ×4, first 2 shown]
	s_and_saveexec_b64 s[2:3], s[0:1]
	s_cbranch_execz .LBB0_27
; %bb.26:
	v_add_f16_e32 v42, v17, v18
	v_fma_f16 v42, v42, -0.5, v11
	v_sub_f16_e32 v20, v20, v23
	s_mov_b32 s0, 0xbb9c
	v_fma_f16 v23, v20, s0, v42
	v_sub_f16_e32 v21, v21, v22
	s_mov_b32 s1, 0xb8b4
	v_fma_f16 v22, v21, s1, v23
	v_sub_f16_e32 v23, v16, v17
	v_sub_f16_e32 v44, v19, v18
	v_fma_f16 v42, v20, s7, v42
	s_movk_i32 s8, 0x38b4
	v_add_f16_e32 v23, v23, v44
	s_movk_i32 s6, 0x34f2
	v_fma_f16 v42, v21, s8, v42
	v_add_f16_e32 v41, v11, v16
	v_fma_f16 v22, v23, s6, v22
	v_fma_f16 v23, v23, s6, v42
	v_add_f16_e32 v42, v16, v19
	v_add_f16_e32 v41, v41, v17
	v_fma_f16 v11, v42, -0.5, v11
	v_add_f16_e32 v41, v41, v18
	v_fma_f16 v42, v21, s7, v11
	v_sub_f16_e32 v16, v17, v16
	v_sub_f16_e32 v17, v18, v19
	v_fma_f16 v11, v21, s0, v11
	v_add_f16_e32 v41, v41, v19
	v_fma_f16 v42, v20, s1, v42
	v_add_f16_e32 v16, v16, v17
	v_fma_f16 v11, v20, s8, v11
	v_fma_f16 v17, v16, s6, v42
	;; [unrolled: 1-line block ×3, first 2 shown]
	ds_write_b16 v40, v41 offset:2200
	ds_write_b16 v40, v22 offset:2222
	;; [unrolled: 1-line block ×5, first 2 shown]
.LBB0_27:
	s_or_b64 exec, exec, s[2:3]
	v_mul_u32_u24_e32 v11, 6, v7
	v_lshlrev_b32_e32 v11, 2, v11
	s_movk_i32 s0, 0x95
	s_waitcnt lgkmcnt(0)
	; wave barrier
	s_waitcnt lgkmcnt(0)
	global_load_dwordx4 v[16:19], v11, s[12:13] offset:176
	global_load_dwordx2 v[40:41], v11, s[12:13] offset:192
	v_mul_lo_u16_sdwa v11, v6, s0 dst_sel:DWORD dst_unused:UNUSED_PAD src0_sel:BYTE_0 src1_sel:DWORD
	v_lshrrev_b16_e32 v11, 13, v11
	v_mul_lo_u16_e32 v11, 55, v11
	v_sub_u16_e32 v11, v6, v11
	v_and_b32_e32 v11, 0xff, v11
	v_mul_u32_u24_e32 v20, 6, v11
	v_lshlrev_b32_e32 v42, 2, v20
	global_load_dwordx4 v[20:23], v42, s[12:13] offset:176
	ds_read_u16 v46, v0
	ds_read_u16 v47, v0 offset:110
	ds_read_u16 v48, v0 offset:440
	ds_read_u16 v49, v0 offset:990
	ds_read_u16 v50, v0 offset:1100
	ds_read_u16 v51, v0 offset:1430
	global_load_dwordx2 v[44:45], v42, s[12:13] offset:192
	ds_read_u16 v42, v0 offset:1760
	ds_read_u16 v52, v0 offset:2090
	;; [unrolled: 1-line block ×15, first 2 shown]
	s_movk_i32 s0, 0x2b26
	s_mov_b32 s2, 0xbcab
	s_movk_i32 s3, 0x39e0
	s_mov_b32 s6, 0xb9e0
	;; [unrolled: 2-line block ×3, first 2 shown]
	s_movk_i32 s1, 0x3b00
	s_movk_i32 s9, 0x370e
	s_waitcnt lgkmcnt(0)
	; wave barrier
	s_waitcnt vmcnt(3) lgkmcnt(0)
	v_mul_f16_sdwa v70, v49, v18 dst_sel:DWORD dst_unused:UNUSED_PAD src0_sel:DWORD src1_sel:WORD_1
	v_mul_f16_sdwa v71, v35, v18 dst_sel:DWORD dst_unused:UNUSED_PAD src0_sel:DWORD src1_sel:WORD_1
	s_waitcnt vmcnt(2)
	v_mul_f16_sdwa v74, v58, v40 dst_sel:DWORD dst_unused:UNUSED_PAD src0_sel:DWORD src1_sel:WORD_1
	v_mul_f16_sdwa v75, v36, v40 dst_sel:DWORD dst_unused:UNUSED_PAD src0_sel:DWORD src1_sel:WORD_1
	;; [unrolled: 1-line block ×10, first 2 shown]
	v_fma_f16 v35, v35, v18, -v70
	v_fma_f16 v49, v49, v18, v71
	v_fma_f16 v36, v36, v40, -v74
	v_fma_f16 v58, v58, v40, v75
	v_fma_f16 v32, v32, v18, -v82
	v_fma_f16 v18, v50, v18, v83
	v_fma_f16 v30, v30, v40, -v86
	v_fma_f16 v40, v42, v40, v87
	s_waitcnt vmcnt(1)
	v_mul_f16_sdwa v42, v55, v20 dst_sel:DWORD dst_unused:UNUSED_PAD src0_sel:DWORD src1_sel:WORD_1
	v_mul_f16_sdwa v50, v53, v21 dst_sel:DWORD dst_unused:UNUSED_PAD src0_sel:DWORD src1_sel:WORD_1
	v_fma_f16 v38, v38, v16, -v66
	v_fma_f16 v56, v56, v16, v67
	v_fma_f16 v33, v33, v16, -v78
	v_fma_f16 v16, v48, v16, v79
	v_mul_f16_sdwa v48, v28, v20 dst_sel:DWORD dst_unused:UNUSED_PAD src0_sel:DWORD src1_sel:WORD_1
	v_fma_f16 v28, v28, v20, -v42
	v_fma_f16 v42, v25, v21, -v50
	v_mul_f16_sdwa v25, v25, v21 dst_sel:DWORD dst_unused:UNUSED_PAD src0_sel:DWORD src1_sel:WORD_1
	v_fma_f16 v21, v53, v21, v25
	v_mul_f16_sdwa v25, v61, v22 dst_sel:DWORD dst_unused:UNUSED_PAD src0_sel:DWORD src1_sel:WORD_1
	v_fma_f16 v25, v29, v22, -v25
	v_mul_f16_sdwa v29, v29, v22 dst_sel:DWORD dst_unused:UNUSED_PAD src0_sel:DWORD src1_sel:WORD_1
	v_fma_f16 v22, v61, v22, v29
	v_mul_f16_sdwa v29, v59, v23 dst_sel:DWORD dst_unused:UNUSED_PAD src0_sel:DWORD src1_sel:WORD_1
	v_fma_f16 v29, v24, v23, -v29
	v_mul_f16_sdwa v24, v24, v23 dst_sel:DWORD dst_unused:UNUSED_PAD src0_sel:DWORD src1_sel:WORD_1
	v_fma_f16 v23, v59, v23, v24
	s_waitcnt vmcnt(0)
	v_mul_f16_sdwa v24, v65, v44 dst_sel:DWORD dst_unused:UNUSED_PAD src0_sel:DWORD src1_sel:WORD_1
	v_fma_f16 v24, v26, v44, -v24
	v_mul_f16_sdwa v26, v26, v44 dst_sel:DWORD dst_unused:UNUSED_PAD src0_sel:DWORD src1_sel:WORD_1
	v_mul_f16_sdwa v68, v62, v17 dst_sel:DWORD dst_unused:UNUSED_PAD src0_sel:DWORD src1_sel:WORD_1
	;; [unrolled: 1-line block ×5, first 2 shown]
	v_fma_f16 v26, v65, v44, v26
	v_mul_f16_sdwa v44, v63, v45 dst_sel:DWORD dst_unused:UNUSED_PAD src0_sel:DWORD src1_sel:WORD_1
	v_mul_f16_sdwa v72, v60, v19 dst_sel:DWORD dst_unused:UNUSED_PAD src0_sel:DWORD src1_sel:WORD_1
	;; [unrolled: 1-line block ×5, first 2 shown]
	v_fma_f16 v43, v43, v17, -v68
	v_fma_f16 v62, v62, v17, v69
	v_fma_f16 v39, v39, v41, -v76
	v_fma_f16 v64, v64, v41, v77
	v_fma_f16 v44, v15, v45, -v44
	v_mul_f16_sdwa v15, v15, v45 dst_sel:DWORD dst_unused:UNUSED_PAD src0_sel:DWORD src1_sel:WORD_1
	v_mul_f16_sdwa v80, v54, v17 dst_sel:DWORD dst_unused:UNUSED_PAD src0_sel:DWORD src1_sel:WORD_1
	;; [unrolled: 1-line block ×5, first 2 shown]
	v_fma_f16 v37, v37, v19, -v72
	v_fma_f16 v60, v60, v19, v73
	v_fma_f16 v31, v31, v19, -v84
	v_fma_f16 v19, v51, v19, v85
	v_fma_f16 v20, v55, v20, v48
	;; [unrolled: 1-line block ×3, first 2 shown]
	v_add_f16_e32 v45, v38, v39
	v_add_f16_e32 v48, v56, v64
	;; [unrolled: 1-line block ×4, first 2 shown]
	v_fma_f16 v34, v34, v17, -v80
	v_fma_f16 v17, v54, v17, v81
	v_fma_f16 v27, v27, v41, -v88
	v_fma_f16 v41, v52, v41, v89
	v_sub_f16_e32 v38, v38, v39
	v_sub_f16_e32 v39, v56, v64
	;; [unrolled: 1-line block ×4, first 2 shown]
	v_add_f16_e32 v52, v35, v37
	v_add_f16_e32 v53, v49, v60
	v_sub_f16_e32 v35, v37, v35
	v_sub_f16_e32 v37, v60, v49
	v_add_f16_e32 v49, v50, v45
	v_add_f16_e32 v54, v51, v48
	v_sub_f16_e32 v55, v50, v45
	v_sub_f16_e32 v56, v51, v48
	;; [unrolled: 1-line block ×6, first 2 shown]
	v_add_f16_e32 v58, v35, v36
	v_add_f16_e32 v59, v37, v43
	v_sub_f16_e32 v60, v35, v36
	v_sub_f16_e32 v61, v37, v43
	;; [unrolled: 1-line block ×4, first 2 shown]
	v_add_f16_e32 v49, v52, v49
	v_add_f16_e32 v52, v53, v54
	v_sub_f16_e32 v35, v38, v35
	v_sub_f16_e32 v37, v39, v37
	v_add_f16_e32 v38, v58, v38
	v_add_f16_e32 v39, v59, v39
	;; [unrolled: 1-line block ×4, first 2 shown]
	v_mul_f16_e32 v45, 0x3a52, v45
	v_mul_f16_e32 v48, 0x3a52, v48
	;; [unrolled: 1-line block ×8, first 2 shown]
	v_fma_f16 v49, v49, s2, v14
	v_fma_f16 v52, v52, s2, v46
	;; [unrolled: 1-line block ×4, first 2 shown]
	v_fma_f16 v53, v55, s3, -v53
	v_fma_f16 v54, v56, s3, -v54
	;; [unrolled: 1-line block ×4, first 2 shown]
	v_fma_f16 v55, v35, s7, v58
	v_fma_f16 v56, v37, s7, v59
	v_fma_f16 v35, v35, s8, -v60
	v_fma_f16 v37, v37, s8, -v61
	;; [unrolled: 1-line block ×4, first 2 shown]
	v_add_f16_e32 v50, v50, v49
	v_add_f16_e32 v51, v51, v52
	;; [unrolled: 1-line block ×6, first 2 shown]
	v_fma_f16 v49, v38, s9, v55
	v_fma_f16 v52, v39, s9, v56
	;; [unrolled: 1-line block ×6, first 2 shown]
	v_add_f16_e32 v38, v52, v50
	v_sub_f16_e32 v39, v51, v49
	v_add_f16_e32 v55, v37, v45
	v_sub_f16_e32 v56, v48, v35
	v_sub_f16_e32 v37, v45, v37
	v_add_f16_e32 v35, v35, v48
	v_sub_f16_e32 v45, v50, v52
	v_add_f16_e32 v48, v49, v51
	v_add_f16_e32 v49, v33, v27
	;; [unrolled: 1-line block ×3, first 2 shown]
	v_sub_f16_e32 v27, v33, v27
	v_sub_f16_e32 v16, v16, v41
	v_add_f16_e32 v33, v34, v30
	v_add_f16_e32 v41, v17, v40
	v_sub_f16_e32 v30, v34, v30
	v_sub_f16_e32 v17, v17, v40
	v_add_f16_e32 v34, v32, v31
	v_add_f16_e32 v40, v18, v19
	;; [unrolled: 4-line block ×3, first 2 shown]
	v_sub_f16_e32 v58, v53, v43
	v_add_f16_e32 v59, v36, v54
	v_add_f16_e32 v43, v43, v53
	v_sub_f16_e32 v36, v54, v36
	v_sub_f16_e32 v51, v33, v49
	;; [unrolled: 1-line block ×7, first 2 shown]
	v_add_f16_e32 v53, v31, v30
	v_add_f16_e32 v54, v18, v17
	v_sub_f16_e32 v60, v31, v30
	v_sub_f16_e32 v61, v18, v17
	;; [unrolled: 1-line block ×4, first 2 shown]
	v_add_f16_e32 v19, v34, v19
	v_add_f16_e32 v32, v40, v32
	v_sub_f16_e32 v31, v27, v31
	v_sub_f16_e32 v18, v16, v18
	v_add_f16_e32 v27, v53, v27
	v_add_f16_e32 v16, v54, v16
	;; [unrolled: 1-line block ×4, first 2 shown]
	v_mul_f16_e32 v40, 0x3a52, v49
	v_mul_f16_e32 v47, 0x3a52, v50
	;; [unrolled: 1-line block ×8, first 2 shown]
	v_fma_f16 v19, v19, s2, v13
	v_fma_f16 v32, v32, s2, v34
	;; [unrolled: 1-line block ×4, first 2 shown]
	v_fma_f16 v49, v51, s3, -v49
	v_fma_f16 v50, v52, s3, -v50
	;; [unrolled: 1-line block ×4, first 2 shown]
	v_fma_f16 v51, v31, s7, v53
	v_fma_f16 v52, v18, s7, v54
	v_fma_f16 v30, v30, s1, -v53
	v_fma_f16 v17, v17, s1, -v54
	;; [unrolled: 1-line block ×4, first 2 shown]
	v_add_f16_e32 v33, v33, v19
	v_add_f16_e32 v41, v41, v32
	;; [unrolled: 1-line block ×6, first 2 shown]
	v_fma_f16 v40, v27, s9, v51
	v_fma_f16 v47, v16, s9, v52
	;; [unrolled: 1-line block ×6, first 2 shown]
	v_add_f16_e32 v18, v47, v33
	v_sub_f16_e32 v51, v41, v40
	v_add_f16_e32 v31, v16, v19
	v_sub_f16_e32 v52, v32, v27
	v_sub_f16_e32 v53, v49, v17
	v_add_f16_e32 v54, v30, v50
	v_add_f16_e32 v17, v17, v49
	v_sub_f16_e32 v49, v50, v30
	v_sub_f16_e32 v16, v19, v16
	v_add_f16_e32 v32, v27, v32
	v_sub_f16_e32 v19, v33, v47
	v_add_f16_e32 v33, v40, v41
	v_add_f16_e32 v27, v28, v44
	;; [unrolled: 1-line block ×3, first 2 shown]
	v_sub_f16_e32 v15, v20, v15
	v_add_f16_e32 v20, v42, v24
	v_add_f16_e32 v40, v21, v26
	v_sub_f16_e32 v24, v42, v24
	v_sub_f16_e32 v21, v21, v26
	v_add_f16_e32 v26, v25, v29
	v_add_f16_e32 v41, v22, v23
	v_sub_f16_e32 v25, v29, v25
	;; [unrolled: 4-line block ×3, first 2 shown]
	v_sub_f16_e32 v42, v20, v27
	v_sub_f16_e32 v44, v40, v30
	;; [unrolled: 1-line block ×6, first 2 shown]
	v_add_f16_e32 v47, v25, v24
	v_add_f16_e32 v50, v22, v21
	v_sub_f16_e32 v61, v22, v21
	v_sub_f16_e32 v21, v21, v15
	v_add_f16_e32 v23, v26, v23
	v_add_f16_e32 v26, v41, v29
	v_sub_f16_e32 v60, v25, v24
	v_sub_f16_e32 v25, v28, v25
	;; [unrolled: 1-line block ×4, first 2 shown]
	v_add_f16_e32 v28, v47, v28
	v_add_f16_e32 v12, v12, v23
	;; [unrolled: 1-line block ×3, first 2 shown]
	v_mul_f16_e32 v27, 0x3a52, v27
	v_mul_f16_e32 v29, 0x3a52, v30
	;; [unrolled: 1-line block ×6, first 2 shown]
	v_add_f16_e32 v15, v50, v15
	v_mul_f16_e32 v50, 0xb846, v60
	v_mul_f16_e32 v60, 0x3b00, v24
	v_fma_f16 v23, v23, s2, v12
	v_fma_f16 v26, v26, s2, v41
	;; [unrolled: 1-line block ×4, first 2 shown]
	v_fma_f16 v30, v42, s3, -v30
	v_fma_f16 v47, v44, s3, -v47
	;; [unrolled: 1-line block ×4, first 2 shown]
	v_fma_f16 v44, v22, s7, v57
	v_fma_f16 v21, v21, s1, -v57
	v_fma_f16 v22, v22, s8, -v61
	v_fma_f16 v42, v25, s7, v50
	v_fma_f16 v24, v24, s1, -v50
	v_fma_f16 v25, v25, s8, -v60
	v_add_f16_e32 v20, v20, v23
	v_add_f16_e32 v40, v40, v26
	;; [unrolled: 1-line block ×6, first 2 shown]
	v_fma_f16 v29, v15, s9, v44
	v_fma_f16 v21, v15, s9, v21
	;; [unrolled: 1-line block ×6, first 2 shown]
	v_add_f16_e32 v22, v29, v20
	v_add_f16_e32 v28, v15, v23
	v_sub_f16_e32 v50, v30, v21
	v_add_f16_e32 v21, v21, v30
	v_sub_f16_e32 v15, v23, v15
	v_sub_f16_e32 v20, v20, v29
	ds_write_b16 v0, v14
	ds_write_b16 v0, v38 offset:110
	ds_write_b16 v0, v55 offset:220
	;; [unrolled: 1-line block ×13, first 2 shown]
	v_lshl_add_u32 v37, v11, 1, 0
	v_sub_f16_e32 v42, v40, v27
	v_sub_f16_e32 v44, v26, v25
	v_add_f16_e32 v57, v24, v47
	v_sub_f16_e32 v47, v47, v24
	v_add_f16_e32 v60, v25, v26
	v_add_f16_e32 v40, v27, v40
	ds_write_b16 v37, v12 offset:1540
	ds_write_b16 v37, v22 offset:1650
	;; [unrolled: 1-line block ×7, first 2 shown]
	s_waitcnt lgkmcnt(0)
	; wave barrier
	s_waitcnt lgkmcnt(0)
	ds_read_u16 v13, v0
	ds_read_u16 v14, v0 offset:110
	ds_read_u16 v19, v0 offset:220
	;; [unrolled: 1-line block ×20, first 2 shown]
	s_waitcnt lgkmcnt(0)
	; wave barrier
	s_waitcnt lgkmcnt(0)
	ds_write_b16 v0, v46
	ds_write_b16 v0, v39 offset:110
	ds_write_b16 v0, v56 offset:220
	;; [unrolled: 1-line block ×20, first 2 shown]
	s_waitcnt lgkmcnt(0)
	; wave barrier
	s_waitcnt lgkmcnt(0)
	s_and_saveexec_b64 s[0:1], vcc
	s_cbranch_execz .LBB0_29
; %bb.28:
	v_lshlrev_b32_e32 v32, 1, v7
	v_add_u32_e32 v33, 0x294, v32
	v_mov_b32_e32 v34, 0
	v_lshlrev_b64 v[35:36], 2, v[33:34]
	v_add_u32_e32 v33, 0x226, v32
	v_mov_b32_e32 v47, s13
	v_add_co_u32_e32 v35, vcc, s12, v35
	v_lshlrev_b64 v[37:38], 2, v[33:34]
	v_addc_co_u32_e32 v36, vcc, v47, v36, vcc
	v_add_co_u32_e32 v37, vcc, s12, v37
	global_load_dwordx2 v[35:36], v[35:36], off offset:1496
	v_addc_co_u32_e32 v38, vcc, v47, v38, vcc
	global_load_dwordx2 v[37:38], v[37:38], off offset:1496
	v_lshlrev_b32_e32 v33, 1, v9
	v_lshlrev_b64 v[39:40], 2, v[33:34]
	v_mul_lo_u32 v9, s5, v3
	v_add_co_u32_e32 v39, vcc, s12, v39
	v_addc_co_u32_e32 v40, vcc, v47, v40, vcc
	global_load_dwordx2 v[39:40], v[39:40], off offset:1496
	v_mul_lo_u32 v4, s4, v4
	v_mad_u64_u32 v[41:42], s[0:1], s4, v3, 0
	v_lshlrev_b32_e32 v33, 1, v8
	ds_read_u16 v48, v10 offset:660
	ds_read_u16 v49, v10 offset:550
	;; [unrolled: 1-line block ×13, first 2 shown]
	v_add3_u32 v42, v42, v4, v9
	v_lshlrev_b64 v[3:4], 2, v[33:34]
	v_lshlrev_b32_e32 v33, 1, v6
	v_lshlrev_b64 v[8:9], 2, v[33:34]
	v_add_co_u32_e32 v3, vcc, s12, v3
	v_addc_co_u32_e32 v4, vcc, v47, v4, vcc
	global_load_dwordx2 v[43:44], v[3:4], off offset:1496
	v_add_co_u32_e32 v3, vcc, s12, v8
	v_addc_co_u32_e32 v4, vcc, v47, v9, vcc
	global_load_dwordx2 v[45:46], v[3:4], off offset:1496
	s_movk_i32 s1, 0x3aee
	s_mov_b32 s2, 0xbaee
	s_mov_b32 s0, 0x551c979b
	s_waitcnt vmcnt(4)
	v_mul_f16_sdwa v3, v31, v36 dst_sel:DWORD dst_unused:UNUSED_PAD src0_sel:DWORD src1_sel:WORD_1
	v_mul_f16_sdwa v4, v30, v35 dst_sel:DWORD dst_unused:UNUSED_PAD src0_sel:DWORD src1_sel:WORD_1
	s_waitcnt lgkmcnt(2)
	v_mul_f16_sdwa v6, v57, v35 dst_sel:DWORD dst_unused:UNUSED_PAD src0_sel:DWORD src1_sel:WORD_1
	v_mul_f16_sdwa v8, v10, v36 dst_sel:DWORD dst_unused:UNUSED_PAD src0_sel:DWORD src1_sel:WORD_1
	v_fma_f16 v3, v10, v36, v3
	v_fma_f16 v4, v57, v35, v4
	v_fma_f16 v6, v30, v35, -v6
	v_fma_f16 v8, v31, v36, -v8
	s_waitcnt vmcnt(3)
	v_mul_f16_sdwa v9, v28, v37 dst_sel:DWORD dst_unused:UNUSED_PAD src0_sel:DWORD src1_sel:WORD_1
	v_mul_f16_sdwa v10, v29, v38 dst_sel:DWORD dst_unused:UNUSED_PAD src0_sel:DWORD src1_sel:WORD_1
	s_waitcnt lgkmcnt(1)
	v_mul_f16_sdwa v30, v58, v37 dst_sel:DWORD dst_unused:UNUSED_PAD src0_sel:DWORD src1_sel:WORD_1
	v_mul_f16_sdwa v31, v51, v38 dst_sel:DWORD dst_unused:UNUSED_PAD src0_sel:DWORD src1_sel:WORD_1
	v_add_f16_e32 v33, v48, v4
	v_add_f16_e32 v35, v12, v6
	v_sub_f16_e32 v36, v6, v8
	v_add_f16_e32 v6, v8, v6
	v_fma_f16 v58, v58, v37, v9
	v_fma_f16 v51, v51, v38, v10
	v_fma_f16 v28, v28, v37, -v30
	v_fma_f16 v29, v29, v38, -v31
	v_add_f16_e32 v9, v3, v33
	v_add_f16_e32 v10, v8, v35
	v_fma_f16 v8, v6, -0.5, v12
	v_add_f16_e32 v12, v58, v51
	v_add_f16_e32 v33, v28, v29
	;; [unrolled: 1-line block ×3, first 2 shown]
	v_fma_f16 v12, v12, -0.5, v49
	v_sub_f16_e32 v30, v28, v29
	v_fma_f16 v33, v33, -0.5, v11
	v_add_f16_e32 v11, v11, v28
	v_sub_f16_e32 v60, v4, v3
	v_fma_f16 v4, v57, -0.5, v48
	v_fma_f16 v31, v30, s2, v12
	v_sub_f16_e32 v35, v58, v51
	v_add_f16_e32 v38, v11, v29
	v_fma_f16 v11, v30, s1, v12
	s_waitcnt vmcnt(2) lgkmcnt(0)
	v_mul_f16_sdwa v30, v59, v39 dst_sel:DWORD dst_unused:UNUSED_PAD src0_sel:DWORD src1_sel:WORD_1
	v_fma_f16 v3, v36, s1, v4
	v_fma_f16 v6, v36, s2, v4
	;; [unrolled: 1-line block ×4, first 2 shown]
	v_lshlrev_b32_e32 v33, 1, v5
	v_fma_f16 v5, v27, v39, -v30
	v_mul_f16_sdwa v30, v52, v40 dst_sel:DWORD dst_unused:UNUSED_PAD src0_sel:DWORD src1_sel:WORD_1
	v_fma_f16 v30, v26, v40, -v30
	v_mul_f16_sdwa v27, v27, v39 dst_sel:DWORD dst_unused:UNUSED_PAD src0_sel:DWORD src1_sel:WORD_1
	v_mul_f16_sdwa v26, v26, v40 dst_sel:DWORD dst_unused:UNUSED_PAD src0_sel:DWORD src1_sel:WORD_1
	v_lshlrev_b64 v[28:29], 2, v[33:34]
	v_fma_f16 v35, v39, v59, v27
	v_fma_f16 v39, v40, v52, v26
	v_add_f16_e32 v26, v35, v39
	v_add_co_u32_e32 v28, vcc, s12, v28
	v_sub_f16_e32 v33, v5, v30
	v_fma_f16 v26, v26, -0.5, v50
	v_addc_co_u32_e32 v29, vcc, v47, v29, vcc
	v_fma_f16 v40, v33, s1, v26
	v_add_f16_e32 v27, v5, v30
	v_fma_f16 v52, v33, s2, v26
	v_mov_b32_e32 v33, v34
	global_load_dwordx2 v[28:29], v[28:29], off offset:1496
	v_fma_f16 v48, v27, -0.5, v25
	v_lshlrev_b64 v[26:27], 2, v[32:33]
	ds_read_u16 v34, v0 offset:1100
	v_add_co_u32_e32 v26, vcc, s12, v26
	v_addc_co_u32_e32 v27, vcc, v47, v27, vcc
	global_load_dwordx2 v[26:27], v[26:27], off offset:1496
	v_add_f16_e32 v5, v25, v5
	ds_read_u16 v25, v0 offset:990
	ds_read_u16 v47, v0 offset:330
	v_add_f16_e32 v37, v49, v58
	v_sub_f16_e32 v49, v35, v39
	v_add_f16_e32 v33, v35, v50
	v_add_f16_e32 v5, v5, v30
	s_waitcnt vmcnt(3) lgkmcnt(2)
	v_mul_f16_sdwa v30, v34, v43 dst_sel:DWORD dst_unused:UNUSED_PAD src0_sel:DWORD src1_sel:WORD_1
	v_mul_f16_sdwa v35, v53, v44 dst_sel:DWORD dst_unused:UNUSED_PAD src0_sel:DWORD src1_sel:WORD_1
	v_fma_f16 v30, v23, v43, -v30
	v_fma_f16 v35, v24, v44, -v35
	v_mul_f16_sdwa v23, v23, v43 dst_sel:DWORD dst_unused:UNUSED_PAD src0_sel:DWORD src1_sel:WORD_1
	v_mul_f16_sdwa v24, v24, v44 dst_sel:DWORD dst_unused:UNUSED_PAD src0_sel:DWORD src1_sel:WORD_1
	v_fma_f16 v23, v43, v34, v23
	v_fma_f16 v24, v44, v53, v24
	v_add_f16_e32 v37, v37, v51
	v_fma_f16 v51, v49, s2, v48
	v_fma_f16 v32, v49, s1, v48
	v_add_f16_e32 v34, v23, v24
	ds_read_u16 v43, v0 offset:880
	ds_read_u16 v44, v0 offset:770
	;; [unrolled: 1-line block ×3, first 2 shown]
	v_add_f16_e32 v50, v30, v35
	v_add_f16_e32 v33, v39, v33
	v_sub_f16_e32 v39, v30, v35
	s_waitcnt lgkmcnt(3)
	v_fma_f16 v34, v34, -0.5, v47
	v_fma_f16 v50, v50, -0.5, v22
	v_sub_f16_e32 v53, v23, v24
	v_add_f16_e32 v23, v23, v47
	v_add_f16_e32 v22, v22, v30
	v_fma_f16 v49, v39, s1, v34
	v_add_f16_e32 v23, v24, v23
	v_add_f16_e32 v22, v22, v35
	v_fma_f16 v24, v39, s2, v34
	s_waitcnt vmcnt(2)
	v_mul_f16_sdwa v34, v25, v45 dst_sel:DWORD dst_unused:UNUSED_PAD src0_sel:DWORD src1_sel:WORD_1
	v_mul_f16_sdwa v35, v54, v46 dst_sel:DWORD dst_unused:UNUSED_PAD src0_sel:DWORD src1_sel:WORD_1
	v_fma_f16 v34, v20, v45, -v34
	v_fma_f16 v35, v21, v46, -v35
	v_mul_f16_sdwa v20, v20, v45 dst_sel:DWORD dst_unused:UNUSED_PAD src0_sel:DWORD src1_sel:WORD_1
	v_mul_f16_sdwa v21, v21, v46 dst_sel:DWORD dst_unused:UNUSED_PAD src0_sel:DWORD src1_sel:WORD_1
	v_fma_f16 v20, v45, v25, v20
	v_fma_f16 v21, v46, v54, v21
	;; [unrolled: 1-line block ×4, first 2 shown]
	v_add_f16_e32 v25, v20, v21
	ds_read_u16 v45, v0 offset:110
	v_add_f16_e32 v47, v34, v35
	v_sub_f16_e32 v50, v20, v21
	s_waitcnt lgkmcnt(1)
	v_add_f16_e32 v20, v20, v48
	v_sub_f16_e32 v39, v34, v35
	v_fma_f16 v47, v47, -0.5, v19
	v_add_f16_e32 v20, v21, v20
	v_add_f16_e32 v19, v19, v34
	v_fma_f16 v25, v25, -0.5, v48
	v_fma_f16 v46, v39, s1, v25
	v_fma_f16 v53, v50, s2, v47
	v_fma_f16 v25, v39, s2, v25
	v_fma_f16 v39, v50, s1, v47
	v_add_f16_e32 v19, v19, v35
	ds_read_u16 v0, v0
	v_fma_f16 v4, v60, s2, v8
	v_fma_f16 v8, v60, s1, v8
	s_waitcnt vmcnt(1)
	v_mul_f16_sdwa v21, v43, v28 dst_sel:DWORD dst_unused:UNUSED_PAD src0_sel:DWORD src1_sel:WORD_1
	v_mul_f16_sdwa v34, v55, v29 dst_sel:DWORD dst_unused:UNUSED_PAD src0_sel:DWORD src1_sel:WORD_1
	v_fma_f16 v21, v17, v28, -v21
	v_fma_f16 v34, v18, v29, -v34
	v_mul_f16_sdwa v17, v17, v28 dst_sel:DWORD dst_unused:UNUSED_PAD src0_sel:DWORD src1_sel:WORD_1
	v_fma_f16 v17, v28, v43, v17
	v_mul_f16_sdwa v18, v18, v29 dst_sel:DWORD dst_unused:UNUSED_PAD src0_sel:DWORD src1_sel:WORD_1
	v_add_f16_e32 v43, v21, v34
	v_fma_f16 v18, v29, v55, v18
	v_fma_f16 v43, v43, -0.5, v14
	v_add_f16_e32 v14, v14, v21
	v_sub_f16_e32 v35, v21, v34
	v_add_f16_e32 v28, v17, v18
	v_sub_f16_e32 v47, v17, v18
	s_waitcnt lgkmcnt(1)
	v_add_f16_e32 v17, v17, v45
	v_add_f16_e32 v21, v14, v34
	s_waitcnt vmcnt(0)
	v_mul_f16_sdwa v14, v44, v26 dst_sel:DWORD dst_unused:UNUSED_PAD src0_sel:DWORD src1_sel:WORD_1
	v_add_f16_e32 v18, v18, v17
	v_fma_f16 v17, v15, v26, -v14
	v_mul_f16_sdwa v14, v56, v27 dst_sel:DWORD dst_unused:UNUSED_PAD src0_sel:DWORD src1_sel:WORD_1
	v_fma_f16 v34, v16, v27, -v14
	v_mul_f16_sdwa v14, v15, v26 dst_sel:DWORD dst_unused:UNUSED_PAD src0_sel:DWORD src1_sel:WORD_1
	v_fma_f16 v26, v26, v44, v14
	v_mul_f16_sdwa v14, v16, v27 dst_sel:DWORD dst_unused:UNUSED_PAD src0_sel:DWORD src1_sel:WORD_1
	v_mul_hi_u32 v15, v7, s0
	v_fma_f16 v27, v27, v56, v14
	v_add_f16_e32 v14, v26, v27
	s_waitcnt lgkmcnt(0)
	v_fma_f16 v16, v14, -0.5, v0
	v_add_f16_e32 v14, v17, v34
	v_fma_f16 v28, v28, -0.5, v45
	v_fma_f16 v45, v14, -0.5, v13
	v_lshrrev_b32_e32 v14, 7, v15
	v_mul_u32_u24_e32 v14, 0x181, v14
	v_sub_u32_e32 v54, v7, v14
	v_mad_u64_u32 v[14:15], s[4:5], s20, v54, 0
	v_fma_f16 v29, v35, s1, v28
	v_fma_f16 v48, v47, s2, v43
	v_fma_f16 v28, v35, s2, v28
	v_fma_f16 v35, v47, s1, v43
	v_sub_f16_e32 v43, v17, v34
	v_sub_f16_e32 v47, v26, v27
	v_add_f16_e32 v26, v26, v0
	v_mov_b32_e32 v0, v15
	v_fma_f16 v44, v43, s1, v16
	v_fma_f16 v50, v47, s2, v45
	;; [unrolled: 1-line block ×3, first 2 shown]
	v_mad_u64_u32 v[15:16], s[2:3], s21, v54, v[0:1]
	v_add_f16_e32 v0, v13, v17
	v_lshlrev_b64 v[16:17], 2, v[41:42]
	v_add_f16_e32 v26, v27, v26
	v_add_f16_e32 v27, v0, v34
	v_mov_b32_e32 v0, s11
	v_add_co_u32_e32 v13, vcc, s10, v16
	v_add_u32_e32 v41, 0x181, v54
	v_addc_co_u32_e32 v34, vcc, v0, v17, vcc
	v_mad_u64_u32 v[16:17], s[2:3], s20, v41, 0
	v_lshlrev_b64 v[0:1], 2, v[1:2]
	v_fma_f16 v45, v47, s1, v45
	v_add_co_u32_e32 v42, vcc, v13, v0
	v_mov_b32_e32 v2, v17
	v_addc_co_u32_e32 v34, vcc, v34, v1, vcc
	v_lshlrev_b64 v[0:1], 2, v[14:15]
	v_mad_u64_u32 v[13:14], s[2:3], s21, v41, v[2:3]
	v_add_u32_e32 v15, 0x302, v54
	v_add_co_u32_e32 v0, vcc, v42, v0
	v_mov_b32_e32 v17, v13
	v_mad_u64_u32 v[13:14], s[2:3], s20, v15, 0
	v_addc_co_u32_e32 v1, vcc, v34, v1, vcc
	v_pack_b32_f16 v2, v27, v26
	global_store_dword v[0:1], v2, off
	v_mov_b32_e32 v2, v14
	v_mad_u64_u32 v[14:15], s[2:3], s21, v15, v[2:3]
	v_add_u32_e32 v2, 55, v7
	v_lshlrev_b64 v[0:1], 2, v[16:17]
	v_mul_hi_u32 v15, v2, s0
	v_add_co_u32_e32 v0, vcc, v42, v0
	v_addc_co_u32_e32 v1, vcc, v34, v1, vcc
	v_pack_b32_f16 v16, v45, v43
	global_store_dword v[0:1], v16, off
	v_lshlrev_b64 v[0:1], 2, v[13:14]
	v_lshrrev_b32_e32 v13, 7, v15
	v_mul_u32_u24_e32 v14, 0x181, v13
	v_sub_u32_e32 v2, v2, v14
	s_movk_i32 s1, 0x483
	v_mad_u32_u24 v17, v13, s1, v2
	v_mad_u64_u32 v[13:14], s[2:3], s20, v17, 0
	v_add_u32_e32 v27, 0x181, v17
	v_add_co_u32_e32 v0, vcc, v42, v0
	v_mov_b32_e32 v2, v14
	v_mad_u64_u32 v[14:15], s[2:3], s21, v17, v[2:3]
	v_mad_u64_u32 v[15:16], s[2:3], s20, v27, 0
	v_addc_co_u32_e32 v1, vcc, v34, v1, vcc
	v_pack_b32_f16 v26, v50, v44
	v_mov_b32_e32 v2, v16
	global_store_dword v[0:1], v26, off
	v_lshlrev_b64 v[0:1], 2, v[13:14]
	v_mad_u64_u32 v[13:14], s[2:3], s21, v27, v[2:3]
	v_add_co_u32_e32 v0, vcc, v42, v0
	v_addc_co_u32_e32 v1, vcc, v34, v1, vcc
	v_pack_b32_f16 v2, v21, v18
	v_mov_b32_e32 v16, v13
	global_store_dword v[0:1], v2, off
	v_lshlrev_b64 v[0:1], 2, v[15:16]
	v_add_u32_e32 v15, 0x302, v17
	v_mad_u64_u32 v[13:14], s[2:3], s20, v15, 0
	v_add_co_u32_e32 v0, vcc, v42, v0
	v_mov_b32_e32 v2, v14
	v_mad_u64_u32 v[14:15], s[2:3], s21, v15, v[2:3]
	v_add_u32_e32 v2, 0x6e, v7
	v_mul_hi_u32 v15, v2, s0
	v_addc_co_u32_e32 v1, vcc, v34, v1, vcc
	v_pack_b32_f16 v16, v35, v28
	global_store_dword v[0:1], v16, off
	v_lshlrev_b64 v[0:1], 2, v[13:14]
	v_lshrrev_b32_e32 v13, 7, v15
	v_mul_u32_u24_e32 v14, 0x181, v13
	v_sub_u32_e32 v2, v2, v14
	v_mad_u32_u24 v17, v13, s1, v2
	v_mad_u64_u32 v[13:14], s[2:3], s20, v17, 0
	v_add_u32_e32 v21, 0x181, v17
	v_add_co_u32_e32 v0, vcc, v42, v0
	v_mov_b32_e32 v2, v14
	v_mad_u64_u32 v[14:15], s[2:3], s21, v17, v[2:3]
	v_mad_u64_u32 v[15:16], s[2:3], s20, v21, 0
	v_addc_co_u32_e32 v1, vcc, v34, v1, vcc
	v_pack_b32_f16 v18, v48, v29
	v_mov_b32_e32 v2, v16
	global_store_dword v[0:1], v18, off
	v_lshlrev_b64 v[0:1], 2, v[13:14]
	v_mad_u64_u32 v[13:14], s[2:3], s21, v21, v[2:3]
	v_add_co_u32_e32 v0, vcc, v42, v0
	v_addc_co_u32_e32 v1, vcc, v34, v1, vcc
	v_pack_b32_f16 v2, v19, v20
	v_mov_b32_e32 v16, v13
	global_store_dword v[0:1], v2, off
	v_lshlrev_b64 v[0:1], 2, v[15:16]
	v_add_u32_e32 v15, 0x302, v17
	v_mad_u64_u32 v[13:14], s[2:3], s20, v15, 0
	v_add_co_u32_e32 v0, vcc, v42, v0
	v_mov_b32_e32 v2, v14
	v_mad_u64_u32 v[14:15], s[2:3], s21, v15, v[2:3]
	v_add_u32_e32 v2, 0xa5, v7
	v_mul_hi_u32 v15, v2, s0
	v_addc_co_u32_e32 v1, vcc, v34, v1, vcc
	v_pack_b32_f16 v16, v39, v25
	global_store_dword v[0:1], v16, off
	v_lshlrev_b64 v[0:1], 2, v[13:14]
	v_lshrrev_b32_e32 v13, 7, v15
	v_mul_u32_u24_e32 v14, 0x181, v13
	v_sub_u32_e32 v2, v2, v14
	;; [unrolled: 33-line block ×3, first 2 shown]
	v_mad_u32_u24 v17, v13, s1, v2
	v_mad_u64_u32 v[13:14], s[2:3], s20, v17, 0
	v_add_u32_e32 v19, 0x181, v17
	v_add_co_u32_e32 v0, vcc, v42, v0
	v_mov_b32_e32 v2, v14
	v_mad_u64_u32 v[14:15], s[2:3], s21, v17, v[2:3]
	v_mad_u64_u32 v[15:16], s[2:3], s20, v19, 0
	v_addc_co_u32_e32 v1, vcc, v34, v1, vcc
	v_pack_b32_f16 v18, v57, v49
	v_mov_b32_e32 v2, v16
	global_store_dword v[0:1], v18, off
	v_lshlrev_b64 v[0:1], 2, v[13:14]
	v_mad_u64_u32 v[13:14], s[2:3], s21, v19, v[2:3]
	v_pack_b32_f16 v2, v5, v33
	v_add_u32_e32 v5, 0x302, v17
	v_mov_b32_e32 v16, v13
	v_mad_u64_u32 v[13:14], s[2:3], s20, v5, 0
	v_add_co_u32_e32 v0, vcc, v42, v0
	v_addc_co_u32_e32 v1, vcc, v34, v1, vcc
	global_store_dword v[0:1], v2, off
	v_mov_b32_e32 v2, v14
	v_lshlrev_b64 v[0:1], 2, v[15:16]
	v_mad_u64_u32 v[14:15], s[2:3], s21, v5, v[2:3]
	v_add_u32_e32 v2, 0x113, v7
	v_mul_hi_u32 v5, v2, s0
	v_add_co_u32_e32 v0, vcc, v42, v0
	v_addc_co_u32_e32 v1, vcc, v34, v1, vcc
	v_pack_b32_f16 v16, v32, v52
	v_lshrrev_b32_e32 v5, 7, v5
	global_store_dword v[0:1], v16, off
	v_lshlrev_b64 v[0:1], 2, v[13:14]
	v_mul_u32_u24_e32 v13, 0x181, v5
	v_sub_u32_e32 v2, v2, v13
	v_mad_u32_u24 v5, v5, s1, v2
	v_mad_u64_u32 v[13:14], s[2:3], s20, v5, 0
	v_add_u32_e32 v18, 0x181, v5
	v_add_co_u32_e32 v0, vcc, v42, v0
	v_mov_b32_e32 v2, v14
	v_mad_u64_u32 v[14:15], s[2:3], s21, v5, v[2:3]
	v_mad_u64_u32 v[15:16], s[2:3], s20, v18, 0
	v_addc_co_u32_e32 v1, vcc, v34, v1, vcc
	v_pack_b32_f16 v17, v51, v40
	v_mov_b32_e32 v2, v16
	global_store_dword v[0:1], v17, off
	v_lshlrev_b64 v[0:1], 2, v[13:14]
	v_mad_u64_u32 v[13:14], s[2:3], s21, v18, v[2:3]
	v_add_co_u32_e32 v0, vcc, v42, v0
	v_add_u32_e32 v5, 0x302, v5
	v_addc_co_u32_e32 v1, vcc, v34, v1, vcc
	v_pack_b32_f16 v2, v38, v37
	v_mov_b32_e32 v16, v13
	v_mad_u64_u32 v[13:14], s[2:3], s20, v5, 0
	v_add_u32_e32 v7, 0x14a, v7
	global_store_dword v[0:1], v2, off
	v_lshlrev_b64 v[0:1], 2, v[15:16]
	v_mul_hi_u32 v16, v7, s0
	v_mov_b32_e32 v2, v14
	v_mad_u64_u32 v[14:15], s[2:3], s21, v5, v[2:3]
	v_lshrrev_b32_e32 v2, 7, v16
	v_mul_u32_u24_e32 v5, 0x181, v2
	v_sub_u32_e32 v5, v7, v5
	v_mad_u32_u24 v5, v2, s1, v5
	v_mad_u64_u32 v[15:16], s[0:1], s20, v5, 0
	v_add_co_u32_e32 v0, vcc, v42, v0
	v_addc_co_u32_e32 v1, vcc, v34, v1, vcc
	v_pack_b32_f16 v17, v36, v31
	v_mov_b32_e32 v2, v16
	v_add_u32_e32 v7, 0x181, v5
	global_store_dword v[0:1], v17, off
	v_lshlrev_b64 v[0:1], 2, v[13:14]
	v_mad_u64_u32 v[13:14], s[0:1], s21, v5, v[2:3]
	v_pack_b32_f16 v2, v12, v11
	v_mad_u64_u32 v[11:12], s[0:1], s20, v7, 0
	v_add_co_u32_e32 v0, vcc, v42, v0
	v_addc_co_u32_e32 v1, vcc, v34, v1, vcc
	v_add_u32_e32 v5, 0x302, v5
	global_store_dword v[0:1], v2, off
	v_mov_b32_e32 v16, v13
	v_mov_b32_e32 v2, v12
	v_mad_u64_u32 v[13:14], s[0:1], s20, v5, 0
	v_lshlrev_b64 v[0:1], 2, v[15:16]
	v_pack_b32_f16 v15, v10, v9
	v_mad_u64_u32 v[9:10], s[0:1], s21, v7, v[2:3]
	v_add_co_u32_e32 v0, vcc, v42, v0
	v_mov_b32_e32 v2, v14
	v_addc_co_u32_e32 v1, vcc, v34, v1, vcc
	v_mov_b32_e32 v12, v9
	v_mad_u64_u32 v[9:10], s[0:1], s21, v5, v[2:3]
	global_store_dword v[0:1], v15, off
	v_lshlrev_b64 v[0:1], 2, v[11:12]
	v_pack_b32_f16 v2, v8, v6
	v_add_co_u32_e32 v0, vcc, v42, v0
	v_addc_co_u32_e32 v1, vcc, v34, v1, vcc
	v_mov_b32_e32 v14, v9
	global_store_dword v[0:1], v2, off
	v_lshlrev_b64 v[0:1], 2, v[13:14]
	v_pack_b32_f16 v2, v4, v3
	v_add_co_u32_e32 v0, vcc, v42, v0
	v_addc_co_u32_e32 v1, vcc, v34, v1, vcc
	global_store_dword v[0:1], v2, off
.LBB0_29:
	s_endpgm
	.section	.rodata,"a",@progbits
	.p2align	6, 0x0
	.amdhsa_kernel fft_rtc_fwd_len1155_factors_11_5_7_3_wgs_55_tpt_55_halfLds_half_op_CI_CI_sbrr_dirReg
		.amdhsa_group_segment_fixed_size 0
		.amdhsa_private_segment_fixed_size 0
		.amdhsa_kernarg_size 104
		.amdhsa_user_sgpr_count 6
		.amdhsa_user_sgpr_private_segment_buffer 1
		.amdhsa_user_sgpr_dispatch_ptr 0
		.amdhsa_user_sgpr_queue_ptr 0
		.amdhsa_user_sgpr_kernarg_segment_ptr 1
		.amdhsa_user_sgpr_dispatch_id 0
		.amdhsa_user_sgpr_flat_scratch_init 0
		.amdhsa_user_sgpr_private_segment_size 0
		.amdhsa_uses_dynamic_stack 0
		.amdhsa_system_sgpr_private_segment_wavefront_offset 0
		.amdhsa_system_sgpr_workgroup_id_x 1
		.amdhsa_system_sgpr_workgroup_id_y 0
		.amdhsa_system_sgpr_workgroup_id_z 0
		.amdhsa_system_sgpr_workgroup_info 0
		.amdhsa_system_vgpr_workitem_id 0
		.amdhsa_next_free_vgpr 111
		.amdhsa_next_free_sgpr 34
		.amdhsa_reserve_vcc 1
		.amdhsa_reserve_flat_scratch 0
		.amdhsa_float_round_mode_32 0
		.amdhsa_float_round_mode_16_64 0
		.amdhsa_float_denorm_mode_32 3
		.amdhsa_float_denorm_mode_16_64 3
		.amdhsa_dx10_clamp 1
		.amdhsa_ieee_mode 1
		.amdhsa_fp16_overflow 0
		.amdhsa_exception_fp_ieee_invalid_op 0
		.amdhsa_exception_fp_denorm_src 0
		.amdhsa_exception_fp_ieee_div_zero 0
		.amdhsa_exception_fp_ieee_overflow 0
		.amdhsa_exception_fp_ieee_underflow 0
		.amdhsa_exception_fp_ieee_inexact 0
		.amdhsa_exception_int_div_zero 0
	.end_amdhsa_kernel
	.text
.Lfunc_end0:
	.size	fft_rtc_fwd_len1155_factors_11_5_7_3_wgs_55_tpt_55_halfLds_half_op_CI_CI_sbrr_dirReg, .Lfunc_end0-fft_rtc_fwd_len1155_factors_11_5_7_3_wgs_55_tpt_55_halfLds_half_op_CI_CI_sbrr_dirReg
                                        ; -- End function
	.section	.AMDGPU.csdata,"",@progbits
; Kernel info:
; codeLenInByte = 17092
; NumSgprs: 38
; NumVgprs: 111
; ScratchSize: 0
; MemoryBound: 0
; FloatMode: 240
; IeeeMode: 1
; LDSByteSize: 0 bytes/workgroup (compile time only)
; SGPRBlocks: 4
; VGPRBlocks: 27
; NumSGPRsForWavesPerEU: 38
; NumVGPRsForWavesPerEU: 111
; Occupancy: 2
; WaveLimiterHint : 1
; COMPUTE_PGM_RSRC2:SCRATCH_EN: 0
; COMPUTE_PGM_RSRC2:USER_SGPR: 6
; COMPUTE_PGM_RSRC2:TRAP_HANDLER: 0
; COMPUTE_PGM_RSRC2:TGID_X_EN: 1
; COMPUTE_PGM_RSRC2:TGID_Y_EN: 0
; COMPUTE_PGM_RSRC2:TGID_Z_EN: 0
; COMPUTE_PGM_RSRC2:TIDIG_COMP_CNT: 0
	.type	__hip_cuid_2c172af91727781a,@object ; @__hip_cuid_2c172af91727781a
	.section	.bss,"aw",@nobits
	.globl	__hip_cuid_2c172af91727781a
__hip_cuid_2c172af91727781a:
	.byte	0                               ; 0x0
	.size	__hip_cuid_2c172af91727781a, 1

	.ident	"AMD clang version 19.0.0git (https://github.com/RadeonOpenCompute/llvm-project roc-6.4.0 25133 c7fe45cf4b819c5991fe208aaa96edf142730f1d)"
	.section	".note.GNU-stack","",@progbits
	.addrsig
	.addrsig_sym __hip_cuid_2c172af91727781a
	.amdgpu_metadata
---
amdhsa.kernels:
  - .args:
      - .actual_access:  read_only
        .address_space:  global
        .offset:         0
        .size:           8
        .value_kind:     global_buffer
      - .offset:         8
        .size:           8
        .value_kind:     by_value
      - .actual_access:  read_only
        .address_space:  global
        .offset:         16
        .size:           8
        .value_kind:     global_buffer
      - .actual_access:  read_only
        .address_space:  global
        .offset:         24
        .size:           8
        .value_kind:     global_buffer
      - .actual_access:  read_only
        .address_space:  global
        .offset:         32
        .size:           8
        .value_kind:     global_buffer
      - .offset:         40
        .size:           8
        .value_kind:     by_value
      - .actual_access:  read_only
        .address_space:  global
        .offset:         48
        .size:           8
        .value_kind:     global_buffer
      - .actual_access:  read_only
        .address_space:  global
        .offset:         56
        .size:           8
        .value_kind:     global_buffer
      - .offset:         64
        .size:           4
        .value_kind:     by_value
      - .actual_access:  read_only
        .address_space:  global
        .offset:         72
        .size:           8
        .value_kind:     global_buffer
      - .actual_access:  read_only
        .address_space:  global
        .offset:         80
        .size:           8
        .value_kind:     global_buffer
      - .actual_access:  read_only
        .address_space:  global
        .offset:         88
        .size:           8
        .value_kind:     global_buffer
      - .actual_access:  write_only
        .address_space:  global
        .offset:         96
        .size:           8
        .value_kind:     global_buffer
    .group_segment_fixed_size: 0
    .kernarg_segment_align: 8
    .kernarg_segment_size: 104
    .language:       OpenCL C
    .language_version:
      - 2
      - 0
    .max_flat_workgroup_size: 55
    .name:           fft_rtc_fwd_len1155_factors_11_5_7_3_wgs_55_tpt_55_halfLds_half_op_CI_CI_sbrr_dirReg
    .private_segment_fixed_size: 0
    .sgpr_count:     38
    .sgpr_spill_count: 0
    .symbol:         fft_rtc_fwd_len1155_factors_11_5_7_3_wgs_55_tpt_55_halfLds_half_op_CI_CI_sbrr_dirReg.kd
    .uniform_work_group_size: 1
    .uses_dynamic_stack: false
    .vgpr_count:     111
    .vgpr_spill_count: 0
    .wavefront_size: 64
amdhsa.target:   amdgcn-amd-amdhsa--gfx906
amdhsa.version:
  - 1
  - 2
...

	.end_amdgpu_metadata
